;; amdgpu-corpus repo=ROCm/rocFFT kind=compiled arch=gfx950 opt=O3
	.text
	.amdgcn_target "amdgcn-amd-amdhsa--gfx950"
	.amdhsa_code_object_version 6
	.protected	fft_rtc_back_len150_factors_10_5_3_wgs_60_tpt_5_halfLds_sp_op_CI_CI_unitstride_sbrr_dirReg ; -- Begin function fft_rtc_back_len150_factors_10_5_3_wgs_60_tpt_5_halfLds_sp_op_CI_CI_unitstride_sbrr_dirReg
	.globl	fft_rtc_back_len150_factors_10_5_3_wgs_60_tpt_5_halfLds_sp_op_CI_CI_unitstride_sbrr_dirReg
	.p2align	8
	.type	fft_rtc_back_len150_factors_10_5_3_wgs_60_tpt_5_halfLds_sp_op_CI_CI_unitstride_sbrr_dirReg,@function
fft_rtc_back_len150_factors_10_5_3_wgs_60_tpt_5_halfLds_sp_op_CI_CI_unitstride_sbrr_dirReg: ; @fft_rtc_back_len150_factors_10_5_3_wgs_60_tpt_5_halfLds_sp_op_CI_CI_unitstride_sbrr_dirReg
; %bb.0:
	s_load_dwordx4 s[4:7], s[0:1], 0x58
	s_load_dwordx4 s[8:11], s[0:1], 0x0
	;; [unrolled: 1-line block ×3, first 2 shown]
	v_mul_u32_u24_e32 v1, 0x3334, v0
	v_lshrrev_b32_e32 v2, 16, v1
	v_mad_u64_u32 v[56:57], s[2:3], s2, 12, v[2:3]
	v_mov_b32_e32 v6, 0
	v_mov_b32_e32 v57, v6
	s_waitcnt lgkmcnt(0)
	v_cmp_lt_u64_e64 s[2:3], s[10:11], 2
	v_mov_b64_e32 v[58:59], 0
	s_and_b64 vcc, exec, s[2:3]
	v_mov_b64_e32 v[2:3], v[58:59]
	v_mov_b64_e32 v[4:5], v[56:57]
	s_cbranch_vccnz .LBB0_8
; %bb.1:
	s_load_dwordx2 s[2:3], s[0:1], 0x10
	s_add_u32 s16, s14, 8
	s_addc_u32 s17, s15, 0
	s_add_u32 s18, s12, 8
	s_addc_u32 s19, s13, 0
	s_waitcnt lgkmcnt(0)
	s_add_u32 s20, s2, 8
	v_mov_b64_e32 v[58:59], 0
	s_addc_u32 s21, s3, 0
	s_mov_b64 s[22:23], 1
	v_mov_b64_e32 v[2:3], v[58:59]
	v_mov_b64_e32 v[8:9], v[56:57]
.LBB0_2:                                ; =>This Inner Loop Header: Depth=1
	s_load_dwordx2 s[24:25], s[20:21], 0x0
                                        ; implicit-def: $vgpr4_vgpr5
	s_waitcnt lgkmcnt(0)
	v_or_b32_e32 v7, s25, v9
	v_cmp_ne_u64_e32 vcc, 0, v[6:7]
	s_and_saveexec_b64 s[2:3], vcc
	s_xor_b64 s[26:27], exec, s[2:3]
	s_cbranch_execz .LBB0_4
; %bb.3:                                ;   in Loop: Header=BB0_2 Depth=1
	v_cvt_f32_u32_e32 v1, s24
	v_cvt_f32_u32_e32 v4, s25
	s_sub_u32 s2, 0, s24
	s_subb_u32 s3, 0, s25
	v_fmac_f32_e32 v1, 0x4f800000, v4
	v_rcp_f32_e32 v1, v1
	s_nop 0
	v_mul_f32_e32 v1, 0x5f7ffffc, v1
	v_mul_f32_e32 v4, 0x2f800000, v1
	v_trunc_f32_e32 v4, v4
	v_fmac_f32_e32 v1, 0xcf800000, v4
	v_cvt_u32_f32_e32 v7, v4
	v_cvt_u32_f32_e32 v1, v1
	v_mul_lo_u32 v4, s2, v7
	v_mul_hi_u32 v10, s2, v1
	v_mul_lo_u32 v5, s3, v1
	v_add_u32_e32 v10, v10, v4
	v_mul_lo_u32 v12, s2, v1
	v_add_u32_e32 v13, v10, v5
	v_mul_hi_u32 v4, v1, v12
	v_mul_hi_u32 v11, v1, v13
	v_mul_lo_u32 v10, v1, v13
	v_mov_b32_e32 v5, v6
	v_lshl_add_u64 v[4:5], v[4:5], 0, v[10:11]
	v_mul_hi_u32 v11, v7, v12
	v_mul_lo_u32 v12, v7, v12
	v_add_co_u32_e32 v4, vcc, v4, v12
	v_mul_hi_u32 v10, v7, v13
	s_nop 0
	v_addc_co_u32_e32 v4, vcc, v5, v11, vcc
	v_mov_b32_e32 v5, v6
	s_nop 0
	v_addc_co_u32_e32 v11, vcc, 0, v10, vcc
	v_mul_lo_u32 v10, v7, v13
	v_lshl_add_u64 v[4:5], v[4:5], 0, v[10:11]
	v_add_co_u32_e32 v1, vcc, v1, v4
	v_mul_lo_u32 v10, s2, v1
	s_nop 0
	v_addc_co_u32_e32 v7, vcc, v7, v5, vcc
	v_mul_lo_u32 v4, s2, v7
	v_mul_hi_u32 v5, s2, v1
	v_add_u32_e32 v4, v5, v4
	v_mul_lo_u32 v5, s3, v1
	v_add_u32_e32 v12, v4, v5
	v_mul_hi_u32 v14, v7, v10
	v_mul_lo_u32 v15, v7, v10
	v_mul_hi_u32 v5, v1, v12
	v_mul_lo_u32 v4, v1, v12
	v_mul_hi_u32 v10, v1, v10
	v_mov_b32_e32 v11, v6
	v_lshl_add_u64 v[4:5], v[10:11], 0, v[4:5]
	v_add_co_u32_e32 v4, vcc, v4, v15
	v_mul_hi_u32 v13, v7, v12
	s_nop 0
	v_addc_co_u32_e32 v4, vcc, v5, v14, vcc
	v_mul_lo_u32 v10, v7, v12
	s_nop 0
	v_addc_co_u32_e32 v11, vcc, 0, v13, vcc
	v_mov_b32_e32 v5, v6
	v_lshl_add_u64 v[4:5], v[4:5], 0, v[10:11]
	v_add_co_u32_e32 v1, vcc, v1, v4
	v_mul_hi_u32 v10, v8, v1
	s_nop 0
	v_addc_co_u32_e32 v7, vcc, v7, v5, vcc
	v_mad_u64_u32 v[4:5], s[2:3], v8, v7, 0
	v_mov_b32_e32 v11, v6
	v_lshl_add_u64 v[4:5], v[10:11], 0, v[4:5]
	v_mad_u64_u32 v[12:13], s[2:3], v9, v1, 0
	v_add_co_u32_e32 v1, vcc, v4, v12
	v_mad_u64_u32 v[10:11], s[2:3], v9, v7, 0
	s_nop 0
	v_addc_co_u32_e32 v4, vcc, v5, v13, vcc
	v_mov_b32_e32 v5, v6
	s_nop 0
	v_addc_co_u32_e32 v11, vcc, 0, v11, vcc
	v_lshl_add_u64 v[4:5], v[4:5], 0, v[10:11]
	v_mul_lo_u32 v1, s25, v4
	v_mul_lo_u32 v7, s24, v5
	v_mad_u64_u32 v[10:11], s[2:3], s24, v4, 0
	v_add3_u32 v1, v11, v7, v1
	v_sub_u32_e32 v7, v9, v1
	v_mov_b32_e32 v11, s25
	v_sub_co_u32_e32 v14, vcc, v8, v10
	v_lshl_add_u64 v[12:13], v[4:5], 0, 1
	s_nop 0
	v_subb_co_u32_e64 v7, s[2:3], v7, v11, vcc
	v_subrev_co_u32_e64 v10, s[2:3], s24, v14
	v_subb_co_u32_e32 v1, vcc, v9, v1, vcc
	s_nop 0
	v_subbrev_co_u32_e64 v7, s[2:3], 0, v7, s[2:3]
	v_cmp_le_u32_e64 s[2:3], s25, v7
	v_cmp_le_u32_e32 vcc, s25, v1
	s_nop 0
	v_cndmask_b32_e64 v11, 0, -1, s[2:3]
	v_cmp_le_u32_e64 s[2:3], s24, v10
	s_nop 1
	v_cndmask_b32_e64 v10, 0, -1, s[2:3]
	v_cmp_eq_u32_e64 s[2:3], s25, v7
	s_nop 1
	v_cndmask_b32_e64 v7, v11, v10, s[2:3]
	v_lshl_add_u64 v[10:11], v[4:5], 0, 2
	v_cmp_ne_u32_e64 s[2:3], 0, v7
	s_nop 1
	v_cndmask_b32_e64 v7, v13, v11, s[2:3]
	v_cndmask_b32_e64 v11, 0, -1, vcc
	v_cmp_le_u32_e32 vcc, s24, v14
	s_nop 1
	v_cndmask_b32_e64 v13, 0, -1, vcc
	v_cmp_eq_u32_e32 vcc, s25, v1
	s_nop 1
	v_cndmask_b32_e32 v1, v11, v13, vcc
	v_cmp_ne_u32_e32 vcc, 0, v1
	v_cndmask_b32_e64 v1, v12, v10, s[2:3]
	s_nop 0
	v_cndmask_b32_e32 v5, v5, v7, vcc
	v_cndmask_b32_e32 v4, v4, v1, vcc
.LBB0_4:                                ;   in Loop: Header=BB0_2 Depth=1
	s_andn2_saveexec_b64 s[2:3], s[26:27]
	s_cbranch_execz .LBB0_6
; %bb.5:                                ;   in Loop: Header=BB0_2 Depth=1
	v_cvt_f32_u32_e32 v1, s24
	s_sub_i32 s26, 0, s24
	v_rcp_iflag_f32_e32 v1, v1
	s_nop 0
	v_mul_f32_e32 v1, 0x4f7ffffe, v1
	v_cvt_u32_f32_e32 v1, v1
	v_mul_lo_u32 v4, s26, v1
	v_mul_hi_u32 v4, v1, v4
	v_add_u32_e32 v1, v1, v4
	v_mul_hi_u32 v1, v8, v1
	v_mul_lo_u32 v4, v1, s24
	v_sub_u32_e32 v4, v8, v4
	v_add_u32_e32 v5, 1, v1
	v_subrev_u32_e32 v7, s24, v4
	v_cmp_le_u32_e32 vcc, s24, v4
	s_nop 1
	v_cndmask_b32_e32 v4, v4, v7, vcc
	v_cndmask_b32_e32 v1, v1, v5, vcc
	v_add_u32_e32 v5, 1, v1
	v_cmp_le_u32_e32 vcc, s24, v4
	s_nop 1
	v_cndmask_b32_e32 v4, v1, v5, vcc
	v_mov_b32_e32 v5, v6
.LBB0_6:                                ;   in Loop: Header=BB0_2 Depth=1
	s_or_b64 exec, exec, s[2:3]
	v_mad_u64_u32 v[10:11], s[2:3], v4, s24, 0
	s_load_dwordx2 s[2:3], s[18:19], 0x0
	v_mul_lo_u32 v1, v5, s24
	v_mul_lo_u32 v7, v4, s25
	s_load_dwordx2 s[24:25], s[16:17], 0x0
	s_add_u32 s22, s22, 1
	v_add3_u32 v1, v11, v7, v1
	v_sub_co_u32_e32 v7, vcc, v8, v10
	s_addc_u32 s23, s23, 0
	s_nop 0
	v_subb_co_u32_e32 v1, vcc, v9, v1, vcc
	s_add_u32 s16, s16, 8
	s_waitcnt lgkmcnt(0)
	v_mul_lo_u32 v8, s2, v1
	v_mul_lo_u32 v9, s3, v7
	v_mad_u64_u32 v[58:59], s[2:3], s2, v7, v[58:59]
	s_addc_u32 s17, s17, 0
	v_add3_u32 v59, v9, v59, v8
	v_mul_lo_u32 v1, s24, v1
	v_mul_lo_u32 v8, s25, v7
	v_mad_u64_u32 v[2:3], s[2:3], s24, v7, v[2:3]
	s_add_u32 s18, s18, 8
	v_add3_u32 v3, v8, v3, v1
	s_addc_u32 s19, s19, 0
	v_mov_b64_e32 v[8:9], s[10:11]
	s_add_u32 s20, s20, 8
	v_cmp_ge_u64_e32 vcc, s[22:23], v[8:9]
	s_addc_u32 s21, s21, 0
	s_cbranch_vccnz .LBB0_8
; %bb.7:                                ;   in Loop: Header=BB0_2 Depth=1
	v_mov_b64_e32 v[8:9], v[4:5]
	s_branch .LBB0_2
.LBB0_8:
	s_load_dwordx2 s[0:1], s[0:1], 0x28
	s_lshl_b64 s[10:11], s[10:11], 3
	s_add_u32 s2, s14, s10
	s_addc_u32 s3, s15, s11
                                        ; implicit-def: $vgpr110
                                        ; implicit-def: $vgpr111
                                        ; implicit-def: $vgpr112
	s_waitcnt lgkmcnt(0)
	v_cmp_gt_u64_e32 vcc, s[0:1], v[4:5]
	v_cmp_le_u64_e64 s[0:1], s[0:1], v[4:5]
	s_and_saveexec_b64 s[14:15], s[0:1]
	s_xor_b64 s[0:1], exec, s[14:15]
; %bb.9:
	s_mov_b32 s14, 0x33333334
	v_mul_hi_u32 v1, v0, s14
	v_mul_u32_u24_e32 v1, 5, v1
	v_sub_u32_e32 v110, v0, v1
	v_or_b32_e32 v111, 40, v110
	v_or_b32_e32 v112, 0x50, v110
                                        ; implicit-def: $vgpr0
                                        ; implicit-def: $vgpr58_vgpr59
; %bb.10:
	s_or_saveexec_b64 s[0:1], s[0:1]
                                        ; implicit-def: $vgpr20
                                        ; implicit-def: $vgpr54
                                        ; implicit-def: $vgpr24
                                        ; implicit-def: $vgpr82
                                        ; implicit-def: $vgpr50
                                        ; implicit-def: $vgpr60
                                        ; implicit-def: $vgpr48
                                        ; implicit-def: $vgpr36
                                        ; implicit-def: $vgpr92
                                        ; implicit-def: $vgpr96
                                        ; implicit-def: $vgpr94
                                        ; implicit-def: $vgpr26
                                        ; implicit-def: $vgpr66
                                        ; implicit-def: $vgpr68
                                        ; implicit-def: $vgpr70
                                        ; implicit-def: $vgpr74
                                        ; implicit-def: $vgpr22
                                        ; implicit-def: $vgpr38
                                        ; implicit-def: $vgpr40
                                        ; implicit-def: $vgpr42
                                        ; implicit-def: $vgpr46
                                        ; implicit-def: $vgpr32
                                        ; implicit-def: $vgpr14
                                        ; implicit-def: $vgpr6
                                        ; implicit-def: $vgpr8
                                        ; implicit-def: $vgpr16
                                        ; implicit-def: $vgpr10
                                        ; implicit-def: $vgpr44
                                        ; implicit-def: $vgpr12
                                        ; implicit-def: $vgpr28
                                        ; implicit-def: $vgpr18
                                        ; implicit-def: $vgpr62
                                        ; implicit-def: $vgpr30
                                        ; implicit-def: $vgpr52
                                        ; implicit-def: $vgpr34
                                        ; implicit-def: $vgpr98
	s_xor_b64 exec, exec, s[0:1]
	s_cbranch_execz .LBB0_12
; %bb.11:
	s_add_u32 s10, s12, s10
	s_addc_u32 s11, s13, s11
	s_load_dwordx2 s[10:11], s[10:11], 0x0
	s_mov_b32 s12, 0x33333334
	s_waitcnt lgkmcnt(0)
	v_mul_lo_u32 v1, s11, v4
	v_mul_lo_u32 v8, s10, v5
	v_mad_u64_u32 v[6:7], s[10:11], s10, v4, 0
	v_add3_u32 v7, v7, v8, v1
	v_mul_hi_u32 v1, v0, s12
	v_mul_u32_u24_e32 v1, 5, v1
	v_sub_u32_e32 v110, v0, v1
	v_lshl_add_u64 v[0:1], v[6:7], 3, s[4:5]
	v_lshl_add_u64 v[0:1], v[58:59], 3, v[0:1]
	v_lshlrev_b32_e32 v6, 3, v110
	v_mov_b32_e32 v7, 0
	v_lshl_add_u64 v[0:1], v[0:1], 0, v[6:7]
	global_load_dwordx2 v[60:61], v[0:1], off
	global_load_dwordx2 v[82:83], v[0:1], off offset:40
	global_load_dwordx2 v[16:17], v[0:1], off offset:240
	;; [unrolled: 1-line block ×29, first 2 shown]
	v_or_b32_e32 v112, 0x50, v110
	v_or_b32_e32 v111, 40, v110
	s_waitcnt vmcnt(29)
	v_mov_b32_e32 v49, v61
	s_waitcnt vmcnt(28)
	v_mov_b32_e32 v27, v83
	;; [unrolled: 2-line block ×9, first 2 shown]
	v_mov_b32_e32 v33, v16
	v_mov_b32_e32 v15, v20
	s_waitcnt vmcnt(14)
	v_mov_b32_e32 v7, v24
	v_mov_b32_e32 v20, v25
	;; [unrolled: 1-line block ×3, first 2 shown]
	s_waitcnt vmcnt(6)
	v_mov_b32_e32 v16, v9
.LBB0_12:
	s_or_b64 exec, exec, s[0:1]
	s_mov_b32 s4, 0x3f737871
	v_mov_b32_e32 v51, v99
	s_waitcnt vmcnt(3)
	v_mov_b32_e32 v53, v35
	s_mov_b32 s5, 0x3f167918
	v_pk_add_f32 v[64:65], v[34:35], v[98:99]
	v_add_f32_e32 v0, v30, v33
	s_mov_b32 s0, s5
	s_mov_b32 s1, s4
	v_pk_add_f32 v[108:109], v[50:51], v[52:53] neg_lo:[0,1] neg_hi:[0,1]
	v_add_f32_e32 v55, v33, v60
	v_fma_f32 v83, -0.5, v64, v60
	v_fmac_f32_e32 v60, -0.5, v0
	v_pk_mul_f32 v[0:1], v[108:109], s[0:1]
	s_mov_b32 s10, 0xaaaaaaab
	v_add_f32_e32 v13, v1, v60
	v_sub_f32_e32 v1, v60, v1
	v_sub_f32_e32 v78, v13, v0
	v_add_f32_e32 v79, v0, v1
	v_mul_hi_u32 v0, v56, s10
	v_lshrrev_b32_e32 v0, 3, v0
	v_mul_lo_u32 v0, v0, 12
	v_mov_b32_e32 v53, v50
	v_mov_b32_e32 v72, v35
	;; [unrolled: 1-line block ×3, first 2 shown]
	v_sub_u32_e32 v113, v56, v0
	v_pk_add_f32 v[0:1], v[52:53], v[72:73] neg_lo:[0,1] neg_hi:[0,1]
	v_mov_b32_e32 v57, v34
	v_mov_b32_e32 v56, v1
	v_pk_add_f32 v[80:81], v[0:1], v[56:57]
	v_mov_b32_e32 v1, v98
	v_mov_b32_e32 v25, v63
	;; [unrolled: 1-line block ×3, first 2 shown]
	v_pk_add_f32 v[76:77], v[0:1], v[56:57] neg_lo:[0,1] neg_hi:[0,1]
	v_mov_b32_e32 v0, v92
	v_mov_b32_e32 v1, v32
	;; [unrolled: 1-line block ×4, first 2 shown]
	v_pk_add_f32 v[106:107], v[24:25], v[28:29] neg_lo:[0,1] neg_hi:[0,1]
	v_mov_b32_e32 v29, v24
	v_mov_b32_e32 v58, v19
	;; [unrolled: 1-line block ×3, first 2 shown]
	v_pk_add_f32 v[84:85], v[0:1], v[56:57] neg_lo:[0,1] neg_hi:[0,1]
	v_pk_add_f32 v[0:1], v[28:29], v[58:59] neg_lo:[0,1] neg_hi:[0,1]
	v_mov_b32_e32 v57, v18
	v_mov_b32_e32 v56, v1
	v_pk_add_f32 v[100:101], v[0:1], v[56:57]
	v_mov_b32_e32 v1, v62
	v_mov_b32_e32 v21, v45
	;; [unrolled: 1-line block ×3, first 2 shown]
	v_pk_add_f32 v[60:61], v[0:1], v[56:57] neg_lo:[0,1] neg_hi:[0,1]
	v_pk_add_f32 v[86:87], v[20:21], v[16:17] neg_lo:[0,1] neg_hi:[0,1]
	v_mov_b32_e32 v17, v20
	v_mov_b32_e32 v56, v11
	;; [unrolled: 1-line block ×3, first 2 shown]
	v_pk_add_f32 v[0:1], v[16:17], v[56:57] neg_lo:[0,1] neg_hi:[0,1]
	v_mov_b32_e32 v89, v10
	v_mov_b32_e32 v88, v1
	v_pk_add_f32 v[102:103], v[0:1], v[88:89]
	v_mov_b32_e32 v1, v44
	v_pk_add_f32 v[0:1], v[0:1], v[88:89] neg_lo:[0,1] neg_hi:[0,1]
	v_mov_b32_e32 v88, v32
	v_mov_b32_e32 v89, v48
	v_pk_add_f32 v[90:91], v[36:37], v[92:93] neg_lo:[0,1] neg_hi:[0,1]
	v_pk_add_f32 v[104:105], v[96:97], v[88:89] neg_lo:[0,1] neg_hi:[0,1]
	;; [unrolled: 1-line block ×3, first 2 shown]
	v_pk_add_f32 v[104:105], v[90:91], v[104:105]
	v_pk_add_f32 v[90:91], v[92:93], v[88:89]
	v_pk_mul_f32 v[116:117], v[114:115], s[4:5] op_sel_hi:[1,0]
	v_pk_fma_f32 v[90:91], v[90:91], 0.5, v[94:95] op_sel_hi:[1,0,1] neg_lo:[1,0,0] neg_hi:[1,0,0]
	v_pk_add_f32 v[88:89], v[88:89], v[92:93] neg_lo:[0,1] neg_hi:[0,1]
	s_mov_b32 s14, s5
	v_pk_add_f32 v[118:119], v[90:91], v[116:117] op_sel:[0,1] op_sel_hi:[1,0] neg_lo:[0,1] neg_hi:[0,1]
	v_pk_add_f32 v[90:91], v[116:117], v[90:91] op_sel:[1,0] op_sel_hi:[0,1]
	v_pk_mul_f32 v[116:117], v[88:89], s[14:15] op_sel_hi:[1,0]
	s_mov_b32 s12, 0x3e9e377a
	v_pk_add_f32 v[118:119], v[116:117], v[118:119] op_sel:[1,0] op_sel_hi:[0,1]
	v_pk_add_f32 v[116:117], v[90:91], v[116:117] op_sel:[0,1] op_sel_hi:[1,0] neg_lo:[0,1] neg_hi:[0,1]
	s_mov_b32 s13, s5
	v_mov_b32_e32 v13, v48
	v_pk_fma_f32 v[90:91], v[104:105], s[12:13], v[118:119] op_sel_hi:[1,0,1]
	v_pk_fma_f32 v[104:105], v[104:105], s[12:13], v[116:117] op_sel_hi:[1,0,1]
	v_pk_add_f32 v[116:117], v[12:13], v[96:97] neg_lo:[0,1] neg_hi:[0,1]
	v_pk_add_f32 v[118:119], v[92:93], v[36:37] neg_lo:[0,1] neg_hi:[0,1]
	v_mov_b32_e32 v116, v85
	v_mov_b32_e32 v118, v84
	v_pk_add_f32 v[84:85], v[118:119], v[116:117]
	v_pk_add_f32 v[116:117], v[36:37], v[96:97]
	v_pk_mul_f32 v[88:89], v[88:89], s[4:5] op_sel_hi:[1,0]
	v_pk_fma_f32 v[116:117], v[116:117], 0.5, v[94:95] op_sel_hi:[1,0,1] neg_lo:[1,0,0] neg_hi:[1,0,0]
	v_pk_mul_f32 v[114:115], v[114:115], s[14:15] op_sel_hi:[1,0]
	v_pk_add_f32 v[118:119], v[116:117], v[88:89] op_sel:[0,1] op_sel_hi:[1,0] neg_lo:[0,1] neg_hi:[0,1]
	v_pk_add_f32 v[88:89], v[88:89], v[116:117] op_sel:[1,0] op_sel_hi:[0,1]
	v_pk_add_f32 v[116:117], v[118:119], v[114:115] op_sel:[0,1] op_sel_hi:[1,0] neg_lo:[0,1] neg_hi:[0,1]
	v_pk_add_f32 v[88:89], v[114:115], v[88:89] op_sel:[1,0] op_sel_hi:[0,1]
	v_pk_mul_f32 v[114:115], v[84:85], s[12:13] op_sel_hi:[1,0]
	v_pk_add_f32 v[118:119], v[30:31], v[34:35] neg_lo:[0,1] neg_hi:[0,1]
	v_add_f32_e32 v51, v115, v89
	v_mov_b32_e32 v89, v117
	v_pk_fma_f32 v[84:85], v[84:85], s[12:13], v[88:89] op_sel_hi:[1,0,1]
	v_mov_b32_e32 v88, v34
	v_mov_b32_e32 v89, v98
	;; [unrolled: 1-line block ×3, first 2 shown]
	v_pk_add_f32 v[88:89], v[88:89], v[30:31] neg_lo:[0,1] neg_hi:[0,1]
	v_mov_b32_e32 v81, v77
	v_add_f32_e32 v0, v88, v89
	v_mul_f32_e32 v0, 0x3e9e377a, v0
	v_mov_b32_e32 v101, v61
	v_mov_b32_e32 v103, v1
	s_mov_b32 s10, s4
	s_mov_b32 s11, s12
	v_pk_add_f32 v[120:121], v[0:1], v[78:79] op_sel_hi:[0,1]
	v_pk_mul_f32 v[88:89], v[80:81], s[12:13]
	v_pk_mul_f32 v[80:81], v[100:101], s[12:13]
	;; [unrolled: 1-line block ×3, first 2 shown]
	v_mov_b32_e32 v102, v104
	v_pk_mul_f32 v[100:101], v[104:105], s[10:11]
	v_mov_b32_e32 v104, v91
	v_mov_b32_e32 v103, v90
	s_mov_b32 s13, 0xbe9e377a
	v_pk_mul_f32 v[104:105], v[104:105], s[4:5] op_sel_hi:[1,0]
	v_mov_b32_e32 v0, v95
	v_pk_fma_f32 v[122:123], v[102:103], s[12:13], v[104:105] neg_lo:[0,0,1] neg_hi:[0,0,1]
	v_mov_b32_e32 v103, v116
	v_add_f32_e32 v102, v50, v49
	v_mov_b32_e32 v105, v114
	v_mov_b32_e32 v104, v99
	v_pk_add_f32 v[102:103], v[104:105], v[102:103]
	v_mov_b32_e32 v104, v95
	v_mov_b32_e32 v95, v98
	v_add_f32_e32 v13, v98, v55
	v_pk_add_f32 v[98:99], v[32:33], v[94:95]
	v_pk_add_f32 v[94:95], v[32:33], v[94:95] neg_lo:[0,1] neg_hi:[0,1]
	v_mov_b32_e32 v32, v97
	v_mov_b32_e32 v99, v95
	;; [unrolled: 1-line block ×3, first 2 shown]
	v_pk_add_f32 v[94:95], v[96:97], v[98:99]
	v_pk_mul_f32 v[96:97], v[108:109], s[4:5]
	v_mov_b32_e32 v76, v37
	v_sub_f32_e32 v21, v83, v96
	v_mov_b32_e32 v37, 0x3e9e377a
	v_sub_f32_e32 v21, v21, v97
	v_pk_add_f32 v[98:99], v[36:37], v[94:95]
	v_pk_mul_f32 v[94:95], v[36:37], v[94:95]
	v_mov_b32_e32 v64, v93
	v_mov_b32_e32 v93, v21
	;; [unrolled: 1-line block ×3, first 2 shown]
	v_pk_add_f32 v[92:93], v[92:93], v[98:99]
	v_add_f32_e32 v98, v34, v13
	v_add_f32_e32 v13, v96, v83
	v_mul_f32_e32 v31, 0x3f167918, v51
	v_mul_f32_e32 v99, 0x3f4f1bbd, v103
	v_add_f32_e32 v13, v97, v13
	s_mov_b32 s16, 0xbf4f1bbd
	s_mov_b32 s17, s5
	v_pk_add_f32 v[108:109], v[98:99], v[30:31]
	v_pk_add_f32 v[98:99], v[98:99], v[30:31] neg_lo:[0,1] neg_hi:[0,1]
	v_add_f32_e32 v34, v95, v13
	v_pk_mul_f32 v[94:95], v[84:85], s[16:17]
	v_mul_u32_u24_e32 v21, 0x96, v113
	v_mov_b32_e32 v98, v108
	v_mov_b32_e32 v60, v95
	v_lshlrev_b32_e32 v36, 2, v21
	v_pk_add_f32 v[116:117], v[92:93], v[98:99]
	v_pk_add_f32 v[96:97], v[108:109], v[92:93] neg_lo:[0,1] neg_hi:[0,1]
	v_mov_b32_e32 v92, v93
	v_mov_b32_e32 v93, v120
	v_mov_b32_e32 v98, v99
	v_mov_b32_e32 v99, v122
	v_pk_fma_f32 v[94:95], v[84:85], s[16:17], v[60:61] neg_lo:[0,0,1] neg_hi:[0,0,1]
	v_add_u32_e32 v21, 0, v36
	v_pk_add_f32 v[92:93], v[92:93], v[98:99] neg_lo:[0,1] neg_hi:[0,1]
	v_pk_add_f32 v[98:99], v[34:35], v[94:95]
	v_mad_u32_u24 v25, v110, 40, v21
	v_mov_b32_e32 v99, v96
	ds_write2_b64 v25, v[98:99], v[92:93] offset0:2 offset1:3
	v_pk_add_f32 v[92:93], v[18:19], v[62:63]
	v_add_f32_e32 v13, v12, v15
	v_add_f32_e32 v31, v15, v82
	v_fma_f32 v55, -0.5, v92, v82
	v_fmac_f32_e32 v82, -0.5, v13
	v_pk_mul_f32 v[96:97], v[106:107], s[0:1]
	v_mov_b32_e32 v83, v14
	v_add_f32_e32 v13, v97, v82
	v_sub_f32_e32 v60, v82, v97
	v_sub_f32_e32 v98, v13, v96
	v_add_f32_e32 v99, v96, v60
	s_waitcnt vmcnt(1)
	v_mov_b32_e32 v82, v68
	v_mov_b32_e32 v96, v66
	;; [unrolled: 1-line block ×3, first 2 shown]
	v_pk_add_f32 v[114:115], v[120:121], v[122:123]
	v_pk_add_f32 v[96:97], v[82:83], v[96:97] neg_lo:[0,1] neg_hi:[0,1]
	v_mov_b32_e32 v82, v121
	v_mov_b32_e32 v83, v34
	;; [unrolled: 1-line block ×4, first 2 shown]
	ds_write2_b64 v25, v[116:117], v[114:115] offset1:1
	v_pk_add_f32 v[114:115], v[82:83], v[108:109] neg_lo:[0,1] neg_hi:[0,1]
	v_mov_b32_e32 v82, v14
	v_mov_b32_e32 v83, v26
	v_pk_add_f32 v[94:95], v[66:67], v[68:69] neg_lo:[0,1] neg_hi:[0,1]
	v_pk_add_f32 v[108:109], v[70:71], v[82:83] neg_lo:[0,1] neg_hi:[0,1]
	;; [unrolled: 1-line block ×3, first 2 shown]
	v_pk_add_f32 v[94:95], v[94:95], v[108:109]
	v_pk_add_f32 v[108:109], v[68:69], v[82:83]
	v_pk_mul_f32 v[118:119], v[116:117], s[4:5] op_sel_hi:[1,0]
	v_pk_fma_f32 v[108:109], v[108:109], 0.5, v[74:75] op_sel_hi:[1,0,1] neg_lo:[1,0,0] neg_hi:[1,0,0]
	v_mov_b32_e32 v13, v26
	v_pk_add_f32 v[120:121], v[108:109], v[118:119] op_sel:[0,1] op_sel_hi:[1,0] neg_lo:[0,1] neg_hi:[0,1]
	v_pk_add_f32 v[108:109], v[118:119], v[108:109] op_sel:[1,0] op_sel_hi:[0,1]
	v_pk_add_f32 v[118:119], v[82:83], v[68:69] neg_lo:[0,1] neg_hi:[0,1]
	v_mov_b32_e32 v60, v75
	v_pk_mul_f32 v[82:83], v[118:119], s[14:15] op_sel_hi:[1,0]
	v_mov_b32_e32 v92, v75
	v_pk_add_f32 v[120:121], v[82:83], v[120:121] op_sel:[1,0] op_sel_hi:[0,1]
	v_pk_add_f32 v[108:109], v[108:109], v[82:83] op_sel:[0,1] op_sel_hi:[1,0] neg_lo:[0,1] neg_hi:[0,1]
	v_pk_fma_f32 v[82:83], v[94:95], s[12:13], v[120:121] op_sel_hi:[1,0,1]
	v_pk_fma_f32 v[120:121], v[94:95], s[12:13], v[108:109] op_sel_hi:[1,0,1]
	v_pk_add_f32 v[94:95], v[12:13], v[70:71] neg_lo:[0,1] neg_hi:[0,1]
	v_pk_add_f32 v[108:109], v[68:69], v[66:67] neg_lo:[0,1] neg_hi:[0,1]
	v_mov_b32_e32 v94, v97
	v_mov_b32_e32 v108, v96
	v_pk_add_f32 v[96:97], v[66:67], v[70:71]
	v_pk_add_f32 v[94:95], v[108:109], v[94:95]
	v_pk_fma_f32 v[96:97], v[96:97], 0.5, v[74:75] op_sel_hi:[1,0,1] neg_lo:[1,0,0] neg_hi:[1,0,0]
	v_pk_mul_f32 v[108:109], v[118:119], s[4:5] op_sel_hi:[1,0]
	v_mov_b32_e32 v122, v120
	v_pk_add_f32 v[118:119], v[96:97], v[108:109] op_sel:[0,1] op_sel_hi:[1,0] neg_lo:[0,1] neg_hi:[0,1]
	v_pk_add_f32 v[96:97], v[108:109], v[96:97] op_sel:[1,0] op_sel_hi:[0,1]
	v_pk_mul_f32 v[108:109], v[116:117], s[14:15] op_sel_hi:[1,0]
	v_mov_b32_e32 v123, v82
	v_pk_add_f32 v[116:117], v[118:119], v[108:109] op_sel:[0,1] op_sel_hi:[1,0] neg_lo:[0,1] neg_hi:[0,1]
	v_pk_add_f32 v[96:97], v[108:109], v[96:97] op_sel:[1,0] op_sel_hi:[0,1]
	v_pk_mul_f32 v[108:109], v[94:95], s[12:13] op_sel_hi:[1,0]
	v_pk_add_f32 v[118:119], v[12:13], v[18:19] neg_lo:[0,1] neg_hi:[0,1]
	v_add_f32_e32 v109, v109, v97
	v_mov_b32_e32 v97, v117
	v_pk_fma_f32 v[94:95], v[94:95], s[12:13], v[96:97] op_sel_hi:[1,0,1]
	v_mov_b32_e32 v96, v18
	v_mov_b32_e32 v97, v62
	;; [unrolled: 1-line block ×3, first 2 shown]
	v_pk_add_f32 v[96:97], v[96:97], v[12:13] neg_lo:[0,1] neg_hi:[0,1]
	v_mov_b32_e32 v75, v62
	v_add_f32_e32 v13, v96, v97
	v_pk_mul_f32 v[96:97], v[120:121], s[10:11]
	v_mov_b32_e32 v120, v83
	v_pk_mul_f32 v[120:121], v[120:121], s[4:5] op_sel_hi:[1,0]
	v_pk_mul_f32 v[106:107], v[106:107], s[4:5]
	v_pk_fma_f32 v[120:121], v[122:123], s[12:13], v[120:121] neg_lo:[0,0,1] neg_hi:[0,0,1]
	v_pk_add_f32 v[122:123], v[14:15], v[74:75]
	v_pk_add_f32 v[74:75], v[14:15], v[74:75] neg_lo:[0,1] neg_hi:[0,1]
	v_mov_b32_e32 v14, v71
	v_mov_b32_e32 v123, v75
	;; [unrolled: 1-line block ×3, first 2 shown]
	v_pk_add_f32 v[74:75], v[70:71], v[122:123]
	v_pk_mul_f32 v[70:71], v[94:95], s[16:17]
	v_mul_f32_e32 v34, 0x3e9e377a, v13
	v_add_f32_e32 v13, v106, v55
	v_mov_b32_e32 v70, v67
	v_mov_b32_e32 v67, v37
	v_pk_add_f32 v[98:99], v[34:35], v[98:99] op_sel_hi:[0,1]
	v_add_f32_e32 v13, v107, v13
	v_mov_b32_e32 v34, v71
	v_pk_mul_f32 v[122:123], v[66:67], v[74:75]
	v_pk_fma_f32 v[118:119], v[94:95], s[16:17], v[34:35] neg_lo:[0,0,1] neg_hi:[0,0,1]
	v_add_f32_e32 v34, v123, v13
	v_sub_f32_e32 v13, v55, v106
	v_sub_f32_e32 v13, v13, v107
	v_add_f32_e32 v31, v62, v31
	v_mov_b32_e32 v62, v63
	v_mov_b32_e32 v63, v108
	v_mov_b32_e32 v107, v116
	v_add_f32_e32 v106, v24, v27
	v_pk_add_f32 v[74:75], v[66:67], v[74:75]
	v_pk_add_f32 v[62:63], v[62:63], v[106:107]
	v_mov_b32_e32 v75, v123
	v_mov_b32_e32 v66, v69
	;; [unrolled: 1-line block ×3, first 2 shown]
	v_pk_add_f32 v[68:69], v[68:69], v[74:75]
	v_mul_f32_e32 v13, 0x3f167918, v109
	v_add_f32_e32 v74, v18, v31
	v_mul_f32_e32 v75, 0x3f4f1bbd, v63
	v_mov_b32_e32 v124, v99
	v_mov_b32_e32 v125, v34
	;; [unrolled: 1-line block ×4, first 2 shown]
	v_pk_add_f32 v[106:107], v[74:75], v[12:13]
	v_pk_add_f32 v[74:75], v[74:75], v[12:13] neg_lo:[0,1] neg_hi:[0,1]
	v_pk_add_f32 v[124:125], v[124:125], v[126:127] neg_lo:[0,1] neg_hi:[0,1]
	v_mov_b32_e32 v74, v106
	ds_write2_b64 v25, v[114:115], v[124:125] offset0:4 offset1:29
	v_pk_add_f32 v[114:115], v[98:99], v[120:121]
	v_pk_add_f32 v[116:117], v[68:69], v[74:75]
	ds_write2_b64 v25, v[116:117], v[114:115] offset0:25 offset1:26
	v_pk_add_f32 v[114:115], v[34:35], v[118:119]
	v_pk_add_f32 v[106:107], v[106:107], v[68:69] neg_lo:[0,1] neg_hi:[0,1]
	v_mov_b32_e32 v68, v69
	v_mov_b32_e32 v69, v98
	;; [unrolled: 1-line block ×4, first 2 shown]
	v_pk_add_f32 v[68:69], v[68:69], v[74:75] neg_lo:[0,1] neg_hi:[0,1]
	v_mov_b32_e32 v115, v106
	ds_write2_b64 v25, v[114:115], v[68:69] offset0:27 offset1:28
	v_pk_add_f32 v[68:69], v[10:11], v[44:45]
	v_add_f32_e32 v13, v8, v7
	v_add_f32_e32 v31, v7, v54
	v_fma_f32 v34, -0.5, v68, v54
	v_fmac_f32_e32 v54, -0.5, v13
	v_pk_mul_f32 v[74:75], v[86:87], s[0:1]
	v_mov_b32_e32 v98, v38
	v_add_f32_e32 v13, v75, v54
	v_sub_f32_e32 v18, v54, v75
	v_sub_f32_e32 v54, v13, v74
	v_add_f32_e32 v55, v74, v18
	s_waitcnt vmcnt(0)
	v_mov_b32_e32 v74, v40
	v_mov_b32_e32 v75, v6
	;; [unrolled: 1-line block ×3, first 2 shown]
	v_pk_add_f32 v[98:99], v[74:75], v[98:99] neg_lo:[0,1] neg_hi:[0,1]
	v_mov_b32_e32 v74, v6
	v_mov_b32_e32 v75, v22
	v_pk_add_f32 v[106:107], v[38:39], v[40:41] neg_lo:[0,1] neg_hi:[0,1]
	v_pk_add_f32 v[114:115], v[42:43], v[74:75] neg_lo:[0,1] neg_hi:[0,1]
	;; [unrolled: 1-line block ×3, first 2 shown]
	v_pk_add_f32 v[106:107], v[106:107], v[114:115]
	v_pk_add_f32 v[114:115], v[40:41], v[74:75]
	v_pk_mul_f32 v[118:119], v[116:117], s[4:5] op_sel_hi:[1,0]
	v_pk_fma_f32 v[114:115], v[114:115], 0.5, v[46:47] op_sel_hi:[1,0,1] neg_lo:[1,0,0] neg_hi:[1,0,0]
	v_mov_b32_e32 v13, v22
	v_pk_add_f32 v[120:121], v[114:115], v[118:119] op_sel:[0,1] op_sel_hi:[1,0] neg_lo:[0,1] neg_hi:[0,1]
	v_pk_add_f32 v[114:115], v[118:119], v[114:115] op_sel:[1,0] op_sel_hi:[0,1]
	v_pk_add_f32 v[118:119], v[74:75], v[40:41] neg_lo:[0,1] neg_hi:[0,1]
	v_pk_mul_f32 v[116:117], v[116:117], s[14:15] op_sel_hi:[1,0]
	v_pk_mul_f32 v[74:75], v[118:119], s[14:15] op_sel_hi:[1,0]
	v_pk_mul_f32 v[118:119], v[118:119], s[4:5] op_sel_hi:[1,0]
	v_pk_add_f32 v[120:121], v[74:75], v[120:121] op_sel:[1,0] op_sel_hi:[0,1]
	v_pk_add_f32 v[114:115], v[114:115], v[74:75] op_sel:[0,1] op_sel_hi:[1,0] neg_lo:[0,1] neg_hi:[0,1]
	v_pk_fma_f32 v[74:75], v[106:107], s[12:13], v[120:121] op_sel_hi:[1,0,1]
	v_pk_fma_f32 v[106:107], v[106:107], s[12:13], v[114:115] op_sel_hi:[1,0,1]
	v_pk_add_f32 v[114:115], v[12:13], v[42:43] neg_lo:[0,1] neg_hi:[0,1]
	v_pk_add_f32 v[120:121], v[40:41], v[38:39] neg_lo:[0,1] neg_hi:[0,1]
	v_mov_b32_e32 v114, v99
	v_mov_b32_e32 v120, v98
	v_pk_add_f32 v[98:99], v[38:39], v[42:43]
	v_pk_add_f32 v[114:115], v[120:121], v[114:115]
	v_pk_fma_f32 v[98:99], v[98:99], 0.5, v[46:47] op_sel_hi:[1,0,1] neg_lo:[1,0,0] neg_hi:[1,0,0]
	v_mov_b32_e32 v122, v106
	v_pk_add_f32 v[120:121], v[98:99], v[118:119] op_sel:[0,1] op_sel_hi:[1,0] neg_lo:[0,1] neg_hi:[0,1]
	v_pk_add_f32 v[98:99], v[118:119], v[98:99] op_sel:[1,0] op_sel_hi:[0,1]
	v_pk_add_f32 v[118:119], v[120:121], v[116:117] op_sel:[0,1] op_sel_hi:[1,0] neg_lo:[0,1] neg_hi:[0,1]
	v_pk_add_f32 v[116:117], v[116:117], v[98:99] op_sel:[1,0] op_sel_hi:[0,1]
	v_mov_b32_e32 v98, v10
	v_mov_b32_e32 v99, v44
	v_pk_add_f32 v[120:121], v[8:9], v[10:11] neg_lo:[0,1] neg_hi:[0,1]
	v_mov_b32_e32 v9, v7
	v_pk_add_f32 v[98:99], v[98:99], v[8:9] neg_lo:[0,1] neg_hi:[0,1]
	v_mov_b32_e32 v123, v74
	v_add_f32_e32 v9, v98, v99
	v_pk_mul_f32 v[98:99], v[106:107], s[10:11]
	v_mov_b32_e32 v106, v75
	v_pk_mul_f32 v[106:107], v[106:107], s[4:5] op_sel_hi:[1,0]
	v_mov_b32_e32 v108, v47
	v_mov_b32_e32 v68, v47
	v_mov_b32_e32 v47, v44
	v_pk_fma_f32 v[122:123], v[122:123], s[12:13], v[106:107] neg_lo:[0,0,1] neg_hi:[0,0,1]
	v_mov_b32_e32 v106, v45
	v_add_f32_e32 v13, v44, v31
	v_pk_add_f32 v[44:45], v[6:7], v[46:47]
	v_pk_add_f32 v[46:47], v[6:7], v[46:47] neg_lo:[0,1] neg_hi:[0,1]
	v_mul_f32_e32 v18, 0x3e9e377a, v9
	v_mov_b32_e32 v45, v47
	v_mov_b32_e32 v6, v43
	;; [unrolled: 1-line block ×3, first 2 shown]
	v_pk_add_f32 v[54:55], v[18:19], v[54:55] op_sel_hi:[0,1]
	v_pk_add_f32 v[42:43], v[42:43], v[44:45]
	v_mov_b32_e32 v18, v39
	v_mov_b32_e32 v39, v37
	v_pk_add_f32 v[44:45], v[38:39], v[42:43]
	v_pk_mul_f32 v[38:39], v[38:39], v[42:43]
	v_pk_mul_f32 v[42:43], v[86:87], s[4:5]
	v_pk_mul_f32 v[124:125], v[114:115], s[12:13] op_sel_hi:[1,0]
	v_sub_f32_e32 v9, v34, v42
	v_mov_b32_e32 v107, v124
	v_add_f32_e32 v126, v20, v23
	v_mov_b32_e32 v127, v118
	v_sub_f32_e32 v9, v9, v43
	v_pk_add_f32 v[106:107], v[106:107], v[126:127]
	v_mov_b32_e32 v86, v41
	v_mov_b32_e32 v41, v9
	v_mov_b32_e32 v45, v39
	v_add_f32_e32 v113, v125, v117
	v_pk_add_f32 v[40:41], v[40:41], v[44:45]
	v_mul_f32_e32 v9, 0x3f167918, v113
	v_add_f32_e32 v44, v10, v13
	v_mul_f32_e32 v45, 0x3f4f1bbd, v107
	v_pk_add_f32 v[46:47], v[44:45], v[8:9]
	v_pk_add_f32 v[44:45], v[44:45], v[8:9] neg_lo:[0,1] neg_hi:[0,1]
	v_add_f32_e32 v9, v42, v34
	v_mov_b32_e32 v117, v119
	v_add_f32_e32 v9, v43, v9
	v_pk_fma_f32 v[114:115], v[114:115], s[12:13], v[116:117] op_sel_hi:[1,0,1]
	v_add_f32_e32 v10, v39, v9
	v_pk_mul_f32 v[38:39], v[114:115], s[16:17]
	v_mov_b32_e32 v44, v46
	v_mov_b32_e32 v34, v39
	v_pk_add_f32 v[124:125], v[40:41], v[44:45]
	v_pk_add_f32 v[42:43], v[46:47], v[40:41] neg_lo:[0,1] neg_hi:[0,1]
	v_mov_b32_e32 v40, v41
	v_mov_b32_e32 v41, v54
	;; [unrolled: 1-line block ×4, first 2 shown]
	v_pk_fma_f32 v[38:39], v[114:115], s[16:17], v[34:35] neg_lo:[0,0,1] neg_hi:[0,0,1]
	v_pk_add_f32 v[40:41], v[40:41], v[44:45] neg_lo:[0,1] neg_hi:[0,1]
	v_pk_add_f32 v[44:45], v[10:11], v[38:39]
	v_mov_b32_e32 v43, v33
	v_mov_b32_e32 v45, v42
	ds_write2_b64 v25, v[44:45], v[40:41] offset0:52 offset1:53
	v_pk_add_f32 v[40:41], v[48:49], v[0:1]
	v_add_f32_e32 v0, v52, v50
	v_mov_b32_e32 v42, v49
	v_mov_b32_e32 v31, v30
	v_mul_f32_e32 v30, 0.5, v0
	v_pk_add_f32 v[116:117], v[42:43], v[30:31] neg_lo:[0,1] neg_hi:[0,1]
	v_mov_b32_e32 v119, 0x3f167918
	v_pk_mul_f32 v[30:31], v[116:117], s[4:5]
	v_mul_f32_e32 v34, 0x3f737871, v77
	v_mov_b32_e32 v118, v35
	v_mov_b32_e32 v35, v119
	;; [unrolled: 1-line block ×3, first 2 shown]
	v_fmamk_f32 v31, v77, 0xbf737871, v116
	v_pk_add_f32 v[42:43], v[116:117], v[34:35]
	v_pk_fma_f32 v[34:35], v[116:117], v[34:35], v[30:31]
	v_pk_add_f32 v[30:31], v[42:43], v[30:31] neg_lo:[0,1] neg_hi:[0,1]
	v_mul_f32_e32 v105, 0.5, v65
	v_mov_b32_e32 v31, v35
	v_pk_add_f32 v[34:35], v[72:73], v[52:53] neg_lo:[0,1] neg_hi:[0,1]
	v_pk_add_f32 v[104:105], v[48:49], v[104:105] neg_lo:[0,1] neg_hi:[0,1]
	v_add_f32_e32 v0, v34, v35
	v_pk_add_f32 v[120:121], v[54:55], v[122:123]
	v_mul_f32_e32 v0, 0x3e9e377a, v0
	v_mov_b32_e32 v41, v105
	v_mul_f32_e32 v33, 0x3f737871, v117
	ds_write2_b64 v25, v[124:125], v[120:121] offset0:50 offset1:51
	v_pk_add_f32 v[120:121], v[0:1], v[30:31] op_sel_hi:[0,1]
	v_pk_add_f32 v[30:31], v[32:33], v[40:41]
	v_mov_b32_e32 v77, v89
	v_pk_add_f32 v[30:31], v[76:77], v[30:31]
	v_mov_b32_e32 v65, v88
	v_pk_add_f32 v[76:77], v[64:65], v[30:31]
	v_pk_add_f32 v[30:31], v[118:119], v[102:103]
	v_pk_mul_f32 v[32:33], v[102:103], s[4:5]
	v_mul_f32_e32 v53, 0x3f4f1bbd, v51
	v_mov_b32_e32 v31, v33
	v_pk_fma_f32 v[124:125], v[90:91], s[10:11], v[100:101] op_sel:[0,0,1] op_sel_hi:[1,1,0]
	v_pk_fma_f32 v[90:91], v[90:91], s[10:11], v[100:101] op_sel:[0,0,1] op_sel_hi:[1,1,0] neg_lo:[0,0,1] neg_hi:[0,0,1]
	v_pk_add_f32 v[100:101], v[52:53], v[30:31]
	v_mov_b32_e32 v30, v55
	v_mov_b32_e32 v31, v10
	;; [unrolled: 1-line block ×4, first 2 shown]
	v_pk_add_f32 v[30:31], v[30:31], v[32:33] neg_lo:[0,1] neg_hi:[0,1]
	v_mov_b32_e32 v91, v125
	ds_write_b64 v25, v[30:31] offset:432
	v_pk_add_f32 v[30:31], v[120:121], v[90:91]
	v_lshlrev_b32_e32 v0, 2, v110
	v_mov_b32_e32 v102, v31
	v_mov_b32_e32 v103, v30
	v_add_u32_e32 v72, v21, v0
	v_pk_add_f32 v[122:123], v[76:77], v[100:101]
	v_fmac_f32_e32 v105, 0xbf737871, v117
	s_load_dwordx2 s[0:1], s[2:3], 0x0
	v_add3_u32 v13, 0, v0, v36
	s_waitcnt lgkmcnt(0)
	; wave barrier
	s_waitcnt lgkmcnt(0)
	v_lshl_add_u32 v73, v111, 2, v21
	ds_read_b32 v9, v72
	ds_read_b32 v10, v73
	ds_read2_b32 v[30:31], v13 offset0:25 offset1:30
	ds_read2_b32 v[38:39], v13 offset0:60 offset1:65
	;; [unrolled: 1-line block ×14, first 2 shown]
	s_waitcnt lgkmcnt(0)
	; wave barrier
	s_waitcnt lgkmcnt(0)
	ds_write2_b64 v25, v[122:123], v[102:103] offset1:1
	v_mul_f32_e32 v102, 0xbf4f1bbd, v85
	v_sub_f32_e32 v67, v105, v89
	v_fmac_f32_e32 v102, 0x3f167918, v84
	v_add_f32_e32 v84, v88, v67
	v_mov_b32_e32 v85, v100
	v_mov_b32_e32 v103, v76
	;; [unrolled: 1-line block ×5, first 2 shown]
	v_pk_add_f32 v[88:89], v[84:85], v[102:103]
	v_pk_add_f32 v[100:101], v[84:85], v[102:103] neg_lo:[0,1] neg_hi:[0,1]
	v_pk_add_f32 v[76:77], v[76:77], v[124:125] neg_lo:[0,1] neg_hi:[0,1]
	v_mov_b32_e32 v89, v101
	v_mul_f32_e32 v93, 0.5, v93
	ds_write2_b64 v25, v[88:89], v[76:77] offset0:2 offset1:3
	v_pk_add_f32 v[76:77], v[26:27], v[60:61]
	v_pk_add_f32 v[88:89], v[26:27], v[92:93] neg_lo:[0,1] neg_hi:[0,1]
	v_mov_b32_e32 v26, v27
	v_mov_b32_e32 v27, v15
	v_add_f32_e32 v15, v28, v24
	v_mov_b32_e32 v93, v12
	v_mul_f32_e32 v92, 0.5, v15
	v_pk_add_f32 v[26:27], v[26:27], v[92:93] neg_lo:[0,1] neg_hi:[0,1]
	v_mul_f32_e32 v60, 0x3f737871, v61
	v_pk_mul_f32 v[92:93], v[26:27], s[4:5]
	v_mov_b32_e32 v77, v89
	v_mov_b32_e32 v92, v93
	v_fmamk_f32 v93, v61, 0xbf737871, v26
	v_mov_b32_e32 v61, v119
	v_mul_f32_e32 v15, 0x3f737871, v27
	v_pk_add_f32 v[100:101], v[26:27], v[60:61]
	v_pk_add_f32 v[58:59], v[58:59], v[28:29] neg_lo:[0,1] neg_hi:[0,1]
	v_pk_add_f32 v[14:15], v[14:15], v[76:77]
	v_mov_b32_e32 v71, v81
	v_mov_b32_e32 v118, v19
	v_pk_fma_f32 v[60:61], v[26:27], v[60:61], v[92:93]
	v_pk_add_f32 v[92:93], v[100:101], v[92:93] neg_lo:[0,1] neg_hi:[0,1]
	v_add_f32_e32 v12, v58, v59
	v_pk_add_f32 v[14:15], v[70:71], v[14:15]
	v_mov_b32_e32 v67, v80
	v_mov_b32_e32 v93, v61
	v_mul_f32_e32 v12, 0x3e9e377a, v12
	v_pk_fma_f32 v[60:61], v[82:83], s[10:11], v[96:97] op_sel:[0,0,1] op_sel_hi:[1,1,0]
	v_pk_fma_f32 v[82:83], v[82:83], s[10:11], v[96:97] op_sel:[0,0,1] op_sel_hi:[1,1,0] neg_lo:[0,0,1] neg_hi:[0,0,1]
	v_pk_add_f32 v[14:15], v[66:67], v[14:15]
	v_pk_add_f32 v[66:67], v[118:119], v[62:63]
	v_pk_mul_f32 v[62:63], v[62:63], s[4:5]
	v_pk_add_f32 v[58:59], v[12:13], v[92:93] op_sel_hi:[0,1]
	v_mov_b32_e32 v67, v63
	v_mul_f32_e32 v29, 0x3f4f1bbd, v109
	v_mov_b32_e32 v83, v61
	v_pk_add_f32 v[28:29], v[28:29], v[66:67]
	v_pk_add_f32 v[62:63], v[58:59], v[82:83]
	v_fmac_f32_e32 v89, 0xbf737871, v27
	v_mov_b32_e32 v66, v63
	v_mov_b32_e32 v67, v62
	v_pk_add_f32 v[62:63], v[14:15], v[28:29]
	v_mul_f32_e32 v26, 0xbf4f1bbd, v95
	v_sub_f32_e32 v12, v89, v81
	ds_write2_b64 v25, v[62:63], v[66:67] offset0:25 offset1:26
	v_fmac_f32_e32 v26, 0x3f167918, v94
	v_add_f32_e32 v66, v80, v12
	v_mul_f32_e32 v69, 0.5, v69
	v_mov_b32_e32 v67, v28
	v_mov_b32_e32 v60, v29
	;; [unrolled: 1-line block ×7, first 2 shown]
	v_pk_add_f32 v[14:15], v[14:15], v[60:61] neg_lo:[0,1] neg_hi:[0,1]
	v_pk_add_f32 v[28:29], v[66:67], v[26:27]
	v_pk_add_f32 v[60:61], v[66:67], v[26:27] neg_lo:[0,1] neg_hi:[0,1]
	v_pk_add_f32 v[26:27], v[58:59], v[82:83] neg_lo:[0,1] neg_hi:[0,1]
	v_pk_add_f32 v[58:59], v[22:23], v[108:109]
	v_pk_add_f32 v[66:67], v[22:23], v[68:69] neg_lo:[0,1] neg_hi:[0,1]
	v_mov_b32_e32 v22, v23
	v_mov_b32_e32 v23, v7
	v_add_f32_e32 v7, v16, v20
	v_mov_b32_e32 v69, v8
	v_mul_f32_e32 v68, 0.5, v7
	v_pk_add_f32 v[22:23], v[22:23], v[68:69] neg_lo:[0,1] neg_hi:[0,1]
	v_mul_f32_e32 v70, 0x3f737871, v1
	v_pk_mul_f32 v[68:69], v[22:23], s[4:5]
	v_mov_b32_e32 v71, v119
	v_mov_b32_e32 v68, v69
	v_fmamk_f32 v69, v1, 0xbf737871, v22
	v_pk_add_f32 v[76:77], v[22:23], v[70:71]
	v_pk_add_f32 v[56:57], v[56:57], v[16:17] neg_lo:[0,1] neg_hi:[0,1]
	v_pk_fma_f32 v[70:71], v[22:23], v[70:71], v[68:69]
	v_pk_add_f32 v[68:69], v[76:77], v[68:69] neg_lo:[0,1] neg_hi:[0,1]
	v_add_f32_e32 v1, v56, v57
	v_mov_b32_e32 v118, v11
	v_mov_b32_e32 v69, v71
	v_mul_f32_e32 v8, 0x3e9e377a, v1
	v_mov_b32_e32 v59, v67
	v_mul_f32_e32 v7, 0x3f737871, v23
	v_fmac_f32_e32 v67, 0xbf737871, v23
	v_pk_add_f32 v[56:57], v[8:9], v[68:69] op_sel_hi:[0,1]
	v_pk_fma_f32 v[68:69], v[74:75], s[10:11], v[98:99] op_sel:[0,0,1] op_sel_hi:[1,1,0]
	v_pk_fma_f32 v[70:71], v[74:75], s[10:11], v[98:99] op_sel:[0,0,1] op_sel_hi:[1,1,0] neg_lo:[0,0,1] neg_hi:[0,0,1]
	v_pk_add_f32 v[6:7], v[6:7], v[58:59]
	v_mov_b32_e32 v19, v79
	v_sub_f32_e32 v1, v67, v79
	v_pk_add_f32 v[58:59], v[118:119], v[106:107]
	v_pk_mul_f32 v[66:67], v[106:107], s[4:5]
	v_pk_add_f32 v[6:7], v[18:19], v[6:7]
	v_mov_b32_e32 v87, v78
	v_mul_f32_e32 v17, 0x3f4f1bbd, v113
	v_mov_b32_e32 v71, v69
	v_mov_b32_e32 v59, v67
	;; [unrolled: 1-line block ×4, first 2 shown]
	v_mul_f32_e32 v22, 0xbf4f1bbd, v115
	v_pk_add_f32 v[6:7], v[86:87], v[6:7]
	v_pk_add_f32 v[66:67], v[56:57], v[70:71]
	;; [unrolled: 1-line block ×3, first 2 shown]
	v_mov_b32_e32 v29, v61
	v_pk_add_f32 v[62:63], v[120:121], v[90:91] neg_lo:[0,1] neg_hi:[0,1]
	v_fmac_f32_e32 v22, 0x3f167918, v114
	v_add_f32_e32 v18, v78, v1
	v_pk_add_f32 v[58:59], v[6:7], v[16:17]
	ds_write2_b64 v25, v[28:29], v[14:15] offset0:27 offset1:28
	ds_write2_b64 v25, v[62:63], v[26:27] offset0:4 offset1:29
	v_mov_b32_e32 v14, v67
	v_mov_b32_e32 v15, v66
	;; [unrolled: 1-line block ×4, first 2 shown]
	ds_write2_b64 v25, v[58:59], v[14:15] offset0:50 offset1:51
	v_pk_add_f32 v[14:15], v[18:19], v[22:23]
	v_pk_add_f32 v[26:27], v[18:19], v[22:23] neg_lo:[0,1] neg_hi:[0,1]
	v_mov_b32_e32 v6, v7
	v_mov_b32_e32 v7, v57
	v_mov_b32_e32 v68, v17
	v_pk_add_f32 v[6:7], v[6:7], v[68:69] neg_lo:[0,1] neg_hi:[0,1]
	v_mov_b32_e32 v15, v27
	v_mov_b32_e32 v57, v18
	v_mov_b32_e32 v71, v22
	v_mov_b32_e32 v1, 0
	ds_write2_b64 v25, v[14:15], v[6:7] offset0:52 offset1:53
	v_pk_add_f32 v[6:7], v[56:57], v[70:71] neg_lo:[0,1] neg_hi:[0,1]
	v_lshl_add_u64 v[18:19], v[0:1], 3, s[8:9]
	ds_write_b64 v25, v[6:7] offset:432
	s_waitcnt lgkmcnt(0)
	; wave barrier
	s_waitcnt lgkmcnt(0)
	global_load_dwordx4 v[14:17], v[18:19], off offset:16
	v_add_u32_e32 v57, 5, v110
	v_lshlrev_b32_e32 v0, 2, v57
	v_add_u32_e32 v58, 20, v110
	s_movk_i32 s2, 0xcd
	v_lshl_add_u64 v[60:61], v[0:1], 3, s[8:9]
	v_mul_lo_u16_sdwa v0, v58, s2 dst_sel:DWORD dst_unused:UNUSED_PAD src0_sel:BYTE_0 src1_sel:DWORD
	v_lshrrev_b16_e32 v0, 11, v0
	global_load_dwordx4 v[22:25], v[60:61], off offset:16
	v_mul_lo_u16_e32 v0, 10, v0
	v_sub_u16_e32 v0, v58, v0
	v_and_b32_e32 v6, 0xff, v0
	v_add_u32_e32 v59, 25, v110
	v_lshlrev_b32_e32 v0, 5, v6
	global_load_dwordx4 v[26:29], v0, s[8:9]
	v_mul_lo_u16_sdwa v7, v59, s2 dst_sel:DWORD dst_unused:UNUSED_PAD src0_sel:BYTE_0 src1_sel:DWORD
	v_lshrrev_b16_e32 v7, 11, v7
	v_mul_lo_u16_e32 v7, 10, v7
	v_sub_u16_e32 v7, v59, v7
	v_and_b32_e32 v7, 0xff, v7
	v_lshlrev_b32_e32 v8, 5, v7
	global_load_dwordx4 v[86:89], v8, s[8:9]
	global_load_dwordx4 v[90:93], v0, s[8:9] offset:16
	global_load_dwordx4 v[94:97], v8, s[8:9] offset:16
	global_load_dwordx4 v[98:101], v[60:61], off
	ds_read2_b32 v[60:61], v13 offset0:90 offset1:95
	ds_read2_b32 v[62:63], v13 offset0:120 offset1:125
	;; [unrolled: 1-line block ×4, first 2 shown]
	global_load_dwordx4 v[102:105], v[18:19], off
	s_movk_i32 s2, 0x96
	s_waitcnt vmcnt(7)
	v_mul_f32_e32 v0, v64, v15
	s_waitcnt lgkmcnt(3)
	v_fma_f32 v79, v60, v14, -v0
	v_mul_f32_e32 v0, v54, v17
	s_waitcnt lgkmcnt(2)
	v_fma_f32 v80, v62, v16, -v0
	v_mul_f32_e32 v0, v52, v15
	v_mul_f32_e32 v83, v60, v15
	s_waitcnt lgkmcnt(1)
	v_mul_f32_e32 v75, v70, v15
	v_fma_f32 v67, v70, v14, -v0
	v_mul_f32_e32 v0, v50, v17
	v_fmac_f32_e32 v83, v64, v14
	v_mul_f32_e32 v85, v62, v17
	v_fmac_f32_e32 v75, v52, v14
	s_waitcnt lgkmcnt(0)
	v_mul_f32_e32 v76, v106, v17
	v_fma_f32 v68, v106, v16, -v0
	s_waitcnt vmcnt(6)
	v_mul_f32_e32 v0, v65, v23
	ds_read2_b32 v[14:15], v13 offset0:50 offset1:55
	v_fmac_f32_e32 v85, v54, v16
	v_fmac_f32_e32 v76, v50, v16
	v_fma_f32 v77, v61, v22, -v0
	v_mul_f32_e32 v0, v55, v25
	ds_read2_b32 v[16:17], v13 offset0:80 offset1:85
	v_fma_f32 v78, v63, v24, -v0
	v_mul_f32_e32 v0, v53, v23
	v_mul_f32_e32 v81, v61, v23
	v_fma_f32 v62, v71, v22, -v0
	v_mul_f32_e32 v0, v51, v25
	v_fmac_f32_e32 v81, v65, v22
	v_fma_f32 v65, v107, v24, -v0
	s_waitcnt vmcnt(5)
	v_mul_f32_e32 v0, v48, v27
	v_mul_f32_e32 v82, v63, v25
	s_waitcnt lgkmcnt(1)
	v_fma_f32 v54, v14, v26, -v0
	v_mul_f32_e32 v0, v46, v29
	v_fmac_f32_e32 v82, v55, v24
	s_waitcnt lgkmcnt(0)
	v_fma_f32 v55, v16, v28, -v0
	s_waitcnt vmcnt(4)
	v_mul_f32_e32 v0, v49, v87
	v_mul_f32_e32 v69, v71, v23
	;; [unrolled: 1-line block ×5, first 2 shown]
	v_fma_f32 v0, v15, v86, -v0
	ds_read2_b32 v[14:15], v13 offset0:110 offset1:115
	v_mul_f32_e32 v8, v47, v89
	v_fmac_f32_e32 v69, v53, v22
	v_fmac_f32_e32 v63, v46, v28
	v_mul_f32_e32 v53, v17, v89
	v_fma_f32 v46, v17, v88, -v8
	ds_read2_b32 v[16:17], v13 offset0:140 offset1:145
	s_waitcnt vmcnt(3)
	v_mul_f32_e32 v8, v44, v91
	s_waitcnt lgkmcnt(1)
	v_fma_f32 v61, v14, v90, -v8
	v_mul_f32_e32 v8, v42, v93
	v_mul_f32_e32 v70, v14, v91
	s_waitcnt lgkmcnt(0)
	v_fma_f32 v64, v16, v92, -v8
	s_waitcnt vmcnt(2)
	v_mul_f32_e32 v8, v45, v95
	v_fmac_f32_e32 v53, v47, v88
	v_fmac_f32_e32 v70, v44, v90
	v_mul_f32_e32 v47, v15, v95
	v_fma_f32 v44, v15, v94, -v8
	ds_read2_b32 v[14:15], v13 offset0:35 offset1:45
	v_mul_f32_e32 v8, v43, v97
	v_mul_f32_e32 v74, v16, v93
	v_fmac_f32_e32 v47, v45, v94
	v_mul_f32_e32 v66, v17, v97
	v_fma_f32 v45, v17, v96, -v8
	s_waitcnt vmcnt(1) lgkmcnt(0)
	v_mul_f32_e32 v88, v14, v99
	v_mul_f32_e32 v8, v40, v99
	ds_read2_b32 v[16:17], v13 offset0:60 offset1:65
	v_mul_f32_e32 v11, v41, v99
	v_fmac_f32_e32 v52, v49, v86
	v_fmac_f32_e32 v88, v40, v98
	v_mul_f32_e32 v84, v15, v99
	v_fma_f32 v86, v14, v98, -v8
	v_fma_f32 v40, v15, v98, -v11
	ds_read2_b32 v[14:15], v13 offset0:70 offset1:75
	v_mul_f32_e32 v8, v39, v101
	s_waitcnt lgkmcnt(1)
	v_mul_f32_e32 v91, v17, v101
	v_fma_f32 v90, v17, v100, -v8
	v_mul_f32_e32 v8, v37, v101
	v_fmac_f32_e32 v91, v39, v100
	s_waitcnt lgkmcnt(0)
	v_fma_f32 v39, v15, v100, -v8
	s_waitcnt vmcnt(0)
	v_mul_f32_e32 v8, v38, v105
	v_fmac_f32_e32 v74, v42, v92
	v_fma_f32 v92, v16, v104, -v8
	ds_read_b32 v8, v73
	v_mul_f32_e32 v71, v107, v25
	v_mul_f32_e32 v93, v16, v105
	v_fmac_f32_e32 v71, v51, v24
	v_fmac_f32_e32 v93, v38, v104
	ds_read2_b32 v[24:25], v13 offset0:25 offset1:30
	ds_read_b32 v38, v72
	s_waitcnt lgkmcnt(2)
	v_mul_f32_e32 v95, v8, v103
	v_fmac_f32_e32 v66, v43, v96
	v_fmac_f32_e32 v95, v10, v102
	v_mul_f32_e32 v10, v10, v103
	s_waitcnt lgkmcnt(1)
	v_mul_f32_e32 v96, v25, v103
	v_fma_f32 v94, v8, v102, -v10
	v_fmac_f32_e32 v96, v31, v102
	v_mul_f32_e32 v8, v31, v103
	v_fma_f32 v25, v25, v102, -v8
	v_add_f32_e32 v8, v9, v96
	v_add_f32_e32 v10, v34, v88
	;; [unrolled: 1-line block ×6, first 2 shown]
	v_fmac_f32_e32 v84, v41, v98
	v_mul_f32_e32 v41, v15, v101
	v_mul_f32_e32 v89, v14, v105
	v_add_f32_e32 v8, v8, v85
	v_add_f32_e32 v10, v10, v82
	v_fmac_f32_e32 v41, v37, v100
	v_fmac_f32_e32 v89, v36, v104
	v_mul_f32_e32 v11, v36, v105
	ds_read2_b32 v[36:37], v13 offset0:5 offset1:10
	ds_read2_b32 v[28:29], v13 offset0:15 offset1:20
	s_waitcnt lgkmcnt(0)
	; wave barrier
	s_waitcnt lgkmcnt(0)
	ds_write2_b32 v13, v8, v10 offset1:5
	v_sub_f32_e32 v8, v96, v93
	v_sub_f32_e32 v10, v85, v83
	v_fma_f32 v87, v14, v104, -v11
	v_add_f32_e32 v8, v8, v10
	v_sub_f32_e32 v10, v88, v91
	v_sub_f32_e32 v11, v82, v81
	v_add_f32_e32 v10, v10, v11
	v_add_f32_e32 v11, v93, v83
	;; [unrolled: 1-line block ×3, first 2 shown]
	v_fma_f32 v11, -0.5, v11, v9
	v_sub_f32_e32 v12, v25, v80
	v_fma_f32 v16, -0.5, v16, v34
	v_sub_f32_e32 v17, v86, v78
	v_fmamk_f32 v14, v12, 0xbf737871, v11
	v_sub_f32_e32 v15, v92, v79
	v_fmamk_f32 v18, v17, 0xbf737871, v16
	v_sub_f32_e32 v19, v90, v77
	v_fmac_f32_e32 v14, 0xbf167918, v15
	v_fmac_f32_e32 v18, 0xbf167918, v19
	;; [unrolled: 1-line block ×4, first 2 shown]
	ds_write2_b32 v13, v14, v18 offset0:10 offset1:15
	v_add_f32_e32 v14, v96, v85
	v_fmac_f32_e32 v9, -0.5, v14
	v_sub_f32_e32 v14, v93, v96
	v_sub_f32_e32 v18, v83, v85
	v_add_f32_e32 v22, v88, v82
	v_add_f32_e32 v14, v14, v18
	v_sub_f32_e32 v18, v91, v88
	v_sub_f32_e32 v20, v81, v82
	v_fma_f32 v22, -0.5, v22, v34
	v_add_f32_e32 v18, v18, v20
	v_fmamk_f32 v20, v15, 0x3f737871, v9
	v_fmamk_f32 v23, v19, 0x3f737871, v22
	v_fmac_f32_e32 v9, 0xbf737871, v15
	v_fmac_f32_e32 v22, 0xbf737871, v19
	;; [unrolled: 1-line block ×10, first 2 shown]
	ds_write2_b32 v13, v9, v22 offset0:30 offset1:35
	v_fmac_f32_e32 v11, 0x3e9e377a, v8
	v_fmac_f32_e32 v16, 0x3e9e377a, v10
	v_sub_f32_e32 v8, v95, v89
	v_sub_f32_e32 v9, v76, v75
	v_add_f32_e32 v10, v35, v95
	ds_write2_b32 v13, v11, v16 offset0:40 offset1:45
	v_add_f32_e32 v8, v8, v9
	v_add_f32_e32 v9, v89, v75
	;; [unrolled: 1-line block ×4, first 2 shown]
	v_fmac_f32_e32 v20, 0xbf167918, v12
	v_fma_f32 v9, -0.5, v9, v35
	v_fmac_f32_e32 v35, -0.5, v11
	v_sub_f32_e32 v11, v89, v95
	v_sub_f32_e32 v12, v75, v76
	v_add_f32_e32 v10, v10, v75
	v_add_f32_e32 v11, v11, v12
	v_sub_f32_e32 v12, v94, v68
	v_add_f32_e32 v10, v10, v76
	v_fmac_f32_e32 v20, 0x3e9e377a, v14
	v_sub_f32_e32 v14, v87, v67
	ds_write_b32 v13, v10 offset:200
	v_fmamk_f32 v10, v12, 0xbf737871, v9
	v_fmac_f32_e32 v23, 0xbf167918, v17
	v_fmamk_f32 v15, v14, 0x3f737871, v35
	v_fmac_f32_e32 v35, 0xbf737871, v14
	v_fmac_f32_e32 v10, 0xbf167918, v14
	;; [unrolled: 1-line block ×6, first 2 shown]
	ds_write2_b32 v13, v20, v23 offset0:20 offset1:25
	v_fmac_f32_e32 v15, 0x3e9e377a, v11
	v_fmac_f32_e32 v35, 0x3e9e377a, v11
	ds_write_b32 v13, v10 offset:240
	ds_write_b32 v13, v15 offset:280
	v_sub_f32_e32 v10, v41, v84
	v_sub_f32_e32 v11, v69, v71
	v_add_f32_e32 v10, v10, v11
	v_add_f32_e32 v11, v84, v71
	v_fma_f32 v11, -0.5, v11, v32
	v_sub_f32_e32 v16, v39, v62
	v_sub_f32_e32 v15, v40, v65
	v_fmamk_f32 v17, v16, 0x3f737871, v11
	v_fmac_f32_e32 v11, 0xbf737871, v16
	v_fmac_f32_e32 v9, 0x3f737871, v12
	;; [unrolled: 1-line block ×8, first 2 shown]
	v_sub_f32_e32 v8, v84, v41
	v_sub_f32_e32 v10, v71, v69
	v_add_f32_e32 v8, v8, v10
	v_add_f32_e32 v10, v41, v69
	v_lshl_add_u32 v31, v112, 2, v21
	v_fma_f32 v10, -0.5, v10, v32
	ds_write_b32 v31, v35
	ds_write2_b32 v13, v17, v11 offset0:75 offset1:85
	v_fmamk_f32 v11, v15, 0xbf737871, v10
	v_fmac_f32_e32 v10, 0x3f737871, v15
	v_fmac_f32_e32 v10, 0x3f167918, v16
	;; [unrolled: 1-line block ×5, first 2 shown]
	ds_write2_b32 v13, v9, v10 offset0:90 offset1:95
	v_fmac_f32_e32 v11, 0x3e9e377a, v8
	v_add_f32_e32 v8, v63, v70
	v_add_f32_e32 v10, v60, v74
	v_fma_f32 v8, -0.5, v8, v33
	v_add_f32_e32 v9, v33, v60
	v_fmac_f32_e32 v33, -0.5, v10
	v_sub_f32_e32 v10, v63, v60
	v_sub_f32_e32 v12, v70, v74
	;; [unrolled: 1-line block ×3, first 2 shown]
	v_add_f32_e32 v10, v10, v12
	v_sub_f32_e32 v12, v54, v64
	v_fmamk_f32 v15, v14, 0x3f737871, v33
	v_fmac_f32_e32 v33, 0xbf737871, v14
	v_fmac_f32_e32 v15, 0xbf167918, v12
	;; [unrolled: 1-line block ×5, first 2 shown]
	v_add_f32_e32 v10, v32, v84
	v_add_f32_e32 v10, v10, v41
	;; [unrolled: 1-line block ×4, first 2 shown]
	ds_write_b32 v13, v10 offset:220
	ds_write_b32 v13, v11 offset:260
	v_lshl_add_u32 v97, v6, 2, v21
	v_add_f32_e32 v6, v53, v47
	v_add_f32_e32 v11, v52, v66
	ds_write2_b32 v97, v15, v33 offset0:120 offset1:130
	v_fma_f32 v6, -0.5, v6, v30
	v_add_f32_e32 v10, v30, v52
	v_fmac_f32_e32 v30, -0.5, v11
	v_sub_f32_e32 v11, v53, v52
	v_sub_f32_e32 v15, v47, v66
	;; [unrolled: 1-line block ×3, first 2 shown]
	v_add_f32_e32 v11, v11, v15
	v_sub_f32_e32 v15, v0, v45
	v_fmamk_f32 v17, v16, 0x3f737871, v30
	v_fmac_f32_e32 v30, 0xbf737871, v16
	v_fmac_f32_e32 v17, 0xbf167918, v15
	;; [unrolled: 1-line block ×5, first 2 shown]
	v_lshl_add_u32 v98, v7, 2, v21
	v_sub_f32_e32 v7, v60, v63
	v_sub_f32_e32 v11, v74, v70
	v_add_f32_e32 v7, v7, v11
	v_add_f32_e32 v9, v9, v63
	v_fmamk_f32 v11, v12, 0xbf737871, v8
	v_add_f32_e32 v9, v9, v70
	v_fmac_f32_e32 v11, 0xbf167918, v14
	v_add_f32_e32 v9, v9, v74
	v_fmac_f32_e32 v11, 0x3e9e377a, v7
	ds_write2_b32 v97, v9, v11 offset0:100 offset1:110
	v_sub_f32_e32 v9, v52, v53
	v_sub_f32_e32 v11, v66, v47
	v_add_f32_e32 v9, v9, v11
	v_add_f32_e32 v10, v10, v53
	v_fmamk_f32 v11, v15, 0xbf737871, v6
	v_fmac_f32_e32 v8, 0x3f737871, v12
	v_fmac_f32_e32 v6, 0x3f737871, v15
	v_add_f32_e32 v10, v10, v47
	v_fmac_f32_e32 v11, 0xbf167918, v16
	v_fmac_f32_e32 v8, 0x3f167918, v14
	;; [unrolled: 1-line block ×3, first 2 shown]
	v_add_f32_e32 v10, v10, v66
	v_fmac_f32_e32 v11, 0x3e9e377a, v9
	v_fmac_f32_e32 v8, 0x3e9e377a, v7
	;; [unrolled: 1-line block ×3, first 2 shown]
	ds_write2_b32 v98, v17, v30 offset0:120 offset1:130
	ds_write2_b32 v98, v10, v11 offset0:100 offset1:110
	ds_write_b32 v97, v8 offset:560
	ds_write_b32 v98, v6 offset:560
	v_add_f32_e32 v6, v38, v25
	v_add_f32_e32 v6, v6, v92
	;; [unrolled: 1-line block ×8, first 2 shown]
	s_waitcnt lgkmcnt(0)
	; wave barrier
	s_waitcnt lgkmcnt(0)
	ds_read2_b32 v[42:43], v13 offset0:5 offset1:10
	ds_read2_b32 v[26:27], v13 offset0:15 offset1:20
	;; [unrolled: 1-line block ×12, first 2 shown]
	ds_read_b32 v56, v72
	ds_read_b32 v12, v73
	ds_read2_b32 v[10:11], v13 offset0:90 offset1:95
	ds_read2_b32 v[8:9], v13 offset0:140 offset1:145
	s_waitcnt lgkmcnt(0)
	; wave barrier
	s_waitcnt lgkmcnt(0)
	ds_write2_b32 v13, v30, v99 offset1:5
	v_sub_f32_e32 v30, v96, v85
	v_sub_f32_e32 v83, v93, v83
	;; [unrolled: 1-line block ×4, first 2 shown]
	v_add_f32_e32 v85, v85, v93
	v_add_f32_e32 v93, v92, v79
	v_fma_f32 v93, -0.5, v93, v38
	v_fmamk_f32 v96, v30, 0x3f737871, v93
	v_fmac_f32_e32 v93, 0xbf737871, v30
	v_fmac_f32_e32 v96, 0x3f167918, v83
	;; [unrolled: 1-line block ×5, first 2 shown]
	v_add_f32_e32 v85, v25, v80
	v_fmac_f32_e32 v38, -0.5, v85
	v_sub_f32_e32 v25, v92, v25
	v_sub_f32_e32 v79, v79, v80
	v_add_f32_e32 v25, v25, v79
	v_fmamk_f32 v79, v83, 0xbf737871, v38
	v_fmac_f32_e32 v38, 0x3f737871, v83
	v_fmac_f32_e32 v79, 0x3f167918, v30
	;; [unrolled: 1-line block ×3, first 2 shown]
	v_sub_f32_e32 v30, v91, v81
	v_sub_f32_e32 v80, v86, v90
	v_sub_f32_e32 v81, v78, v77
	v_add_f32_e32 v80, v80, v81
	v_add_f32_e32 v81, v90, v77
	;; [unrolled: 1-line block ×3, first 2 shown]
	v_fmac_f32_e32 v79, 0x3e9e377a, v25
	v_fmac_f32_e32 v38, 0x3e9e377a, v25
	v_sub_f32_e32 v25, v88, v82
	v_fma_f32 v81, -0.5, v81, v36
	v_fma_f32 v36, -0.5, v83, v36
	v_fmamk_f32 v82, v25, 0x3f737871, v81
	v_fmac_f32_e32 v81, 0xbf737871, v25
	v_sub_f32_e32 v77, v77, v78
	v_fmamk_f32 v78, v30, 0xbf737871, v36
	v_fmac_f32_e32 v36, 0x3f737871, v30
	v_fmac_f32_e32 v82, 0x3f167918, v30
	v_fmac_f32_e32 v81, 0xbf167918, v30
	v_fmac_f32_e32 v78, 0x3f167918, v25
	v_fmac_f32_e32 v36, 0xbf167918, v25
	v_sub_f32_e32 v25, v95, v76
	v_sub_f32_e32 v30, v89, v75
	;; [unrolled: 1-line block ×4, first 2 shown]
	v_fmac_f32_e32 v82, 0x3e9e377a, v80
	v_fmac_f32_e32 v81, 0x3e9e377a, v80
	v_sub_f32_e32 v80, v90, v86
	v_add_f32_e32 v75, v75, v76
	v_add_f32_e32 v76, v87, v67
	;; [unrolled: 1-line block ×3, first 2 shown]
	v_fma_f32 v76, -0.5, v76, v37
	v_fmac_f32_e32 v78, 0x3e9e377a, v77
	v_fmac_f32_e32 v36, 0x3e9e377a, v77
	v_fmamk_f32 v77, v25, 0x3f737871, v76
	v_fmac_f32_e32 v76, 0xbf737871, v25
	v_fmac_f32_e32 v77, 0x3f167918, v30
	;; [unrolled: 1-line block ×5, first 2 shown]
	v_add_f32_e32 v75, v37, v94
	v_add_f32_e32 v80, v94, v68
	;; [unrolled: 1-line block ×3, first 2 shown]
	v_fmac_f32_e32 v37, -0.5, v80
	v_add_f32_e32 v75, v75, v67
	v_sub_f32_e32 v80, v87, v94
	v_add_f32_e32 v75, v75, v68
	v_sub_f32_e32 v67, v67, v68
	v_fmamk_f32 v68, v30, 0xbf737871, v37
	v_fmac_f32_e32 v37, 0x3f737871, v30
	v_add_f32_e32 v67, v80, v67
	v_fmac_f32_e32 v68, 0x3f167918, v25
	v_fmac_f32_e32 v37, 0xbf167918, v25
	;; [unrolled: 1-line block ×4, first 2 shown]
	v_sub_f32_e32 v30, v41, v69
	v_sub_f32_e32 v41, v40, v39
	;; [unrolled: 1-line block ×3, first 2 shown]
	v_add_f32_e32 v41, v41, v67
	v_add_f32_e32 v67, v39, v62
	v_sub_f32_e32 v25, v84, v71
	v_fma_f32 v67, -0.5, v67, v28
	v_fmamk_f32 v69, v25, 0x3f737871, v67
	v_fmac_f32_e32 v67, 0xbf737871, v25
	v_fmac_f32_e32 v69, 0x3f167918, v30
	;; [unrolled: 1-line block ×5, first 2 shown]
	v_add_f32_e32 v41, v28, v40
	v_add_f32_e32 v41, v41, v39
	v_sub_f32_e32 v39, v39, v40
	v_add_f32_e32 v40, v40, v65
	v_fma_f32 v28, -0.5, v40, v28
	v_add_f32_e32 v41, v41, v62
	v_sub_f32_e32 v62, v62, v65
	v_fmamk_f32 v40, v30, 0xbf737871, v28
	v_fmac_f32_e32 v28, 0x3f737871, v30
	v_add_f32_e32 v39, v39, v62
	v_fmac_f32_e32 v40, 0x3f167918, v25
	v_fmac_f32_e32 v28, 0xbf167918, v25
	;; [unrolled: 1-line block ×4, first 2 shown]
	v_sub_f32_e32 v25, v60, v74
	v_sub_f32_e32 v39, v54, v55
	;; [unrolled: 1-line block ×3, first 2 shown]
	v_add_f32_e32 v39, v39, v60
	v_add_f32_e32 v60, v55, v61
	v_fma_f32 v60, -0.5, v60, v29
	v_sub_f32_e32 v30, v63, v70
	v_fmamk_f32 v62, v25, 0x3f737871, v60
	v_fmac_f32_e32 v60, 0xbf737871, v25
	v_fmac_f32_e32 v62, 0x3f167918, v30
	;; [unrolled: 1-line block ×5, first 2 shown]
	v_add_f32_e32 v39, v29, v54
	v_add_f32_e32 v63, v54, v64
	v_fmac_f32_e32 v29, -0.5, v63
	v_add_f32_e32 v39, v39, v55
	v_sub_f32_e32 v54, v55, v54
	v_sub_f32_e32 v55, v61, v64
	v_add_f32_e32 v54, v54, v55
	v_fmamk_f32 v55, v30, 0xbf737871, v29
	v_fmac_f32_e32 v29, 0x3f737871, v30
	v_fmac_f32_e32 v55, 0x3f167918, v25
	;; [unrolled: 1-line block ×3, first 2 shown]
	v_sub_f32_e32 v25, v52, v66
	v_sub_f32_e32 v30, v53, v47
	;; [unrolled: 1-line block ×4, first 2 shown]
	v_add_f32_e32 v47, v47, v52
	v_add_f32_e32 v52, v46, v44
	v_fma_f32 v52, -0.5, v52, v24
	v_fmamk_f32 v53, v25, 0x3f737871, v52
	v_fmac_f32_e32 v52, 0xbf737871, v25
	v_fmac_f32_e32 v53, 0x3f167918, v30
	;; [unrolled: 1-line block ×5, first 2 shown]
	v_add_f32_e32 v47, v24, v0
	v_fmac_f32_e32 v55, 0x3e9e377a, v54
	v_fmac_f32_e32 v29, 0x3e9e377a, v54
	v_add_f32_e32 v54, v0, v45
	v_add_f32_e32 v47, v47, v46
	v_fmac_f32_e32 v24, -0.5, v54
	v_sub_f32_e32 v0, v46, v0
	v_add_f32_e32 v46, v47, v44
	v_sub_f32_e32 v44, v44, v45
	v_add_f32_e32 v0, v0, v44
	v_fmamk_f32 v44, v30, 0xbf737871, v24
	v_fmac_f32_e32 v24, 0x3f737871, v30
	v_add_f32_e32 v39, v39, v61
	v_fmac_f32_e32 v44, 0x3f167918, v25
	v_fmac_f32_e32 v24, 0xbf167918, v25
	v_add_f32_e32 v41, v41, v65
	v_add_f32_e32 v39, v39, v64
	;; [unrolled: 1-line block ×3, first 2 shown]
	v_fmac_f32_e32 v44, 0x3e9e377a, v0
	v_fmac_f32_e32 v24, 0x3e9e377a, v0
	ds_write2_b32 v13, v96, v82 offset0:10 offset1:15
	ds_write2_b32 v13, v79, v78 offset0:20 offset1:25
	;; [unrolled: 1-line block ×4, first 2 shown]
	ds_write_b32 v13, v75 offset:200
	ds_write_b32 v13, v77 offset:240
	;; [unrolled: 1-line block ×3, first 2 shown]
	ds_write_b32 v31, v37
	ds_write_b32 v13, v41 offset:220
	ds_write_b32 v13, v69 offset:260
	ds_write2_b32 v13, v40, v28 offset0:75 offset1:85
	ds_write2_b32 v13, v76, v67 offset0:90 offset1:95
	;; [unrolled: 1-line block ×4, first 2 shown]
	ds_write_b32 v97, v60 offset:560
	ds_write2_b32 v98, v46, v53 offset0:100 offset1:110
	ds_write2_b32 v98, v44, v24 offset0:120 offset1:130
	ds_write_b32 v98, v52 offset:560
	s_waitcnt lgkmcnt(0)
	; wave barrier
	s_waitcnt lgkmcnt(0)
	s_and_saveexec_b64 s[4:5], vcc
	s_cbranch_execz .LBB0_14
; %bb.13:
	v_lshlrev_b32_e32 v24, 1, v110
	v_mov_b32_e32 v25, v1
	v_lshl_add_u64 v[28:29], v[24:25], 3, s[8:9]
	global_load_dwordx4 v[74:77], v[28:29], off offset:320
	v_add_u32_e32 v0, 0x5a, v24
	v_lshl_add_u64 v[30:31], v[0:1], 3, s[8:9]
	v_lshlrev_b32_e32 v0, 1, v111
	v_lshl_add_u64 v[40:41], v[0:1], 3, s[8:9]
	v_add_u32_e32 v0, 0x46, v24
	v_lshl_add_u64 v[46:47], v[0:1], 3, s[8:9]
	v_add_u32_e32 v0, 60, v24
	v_lshl_add_u64 v[54:55], v[0:1], 3, s[8:9]
	v_lshlrev_b32_e32 v0, 1, v59
	v_lshl_add_u64 v[62:63], v[0:1], 3, s[8:9]
	v_lshlrev_b32_e32 v0, 1, v58
	v_lshl_add_u64 v[66:67], v[0:1], 3, s[8:9]
	v_add_u32_e32 v0, 30, v24
	v_lshl_add_u64 v[86:87], v[0:1], 3, s[8:9]
	v_add_u32_e32 v0, 20, v24
	v_lshl_add_u64 v[82:83], v[0:1], 3, s[8:9]
	v_lshlrev_b32_e32 v0, 1, v57
	v_lshl_add_u64 v[24:25], v[0:1], 3, s[8:9]
	global_load_dwordx4 v[78:81], v[24:25], off offset:320
	v_mul_lo_u32 v0, s1, v4
	v_mul_lo_u32 v92, s0, v5
	v_mad_u64_u32 v[84:85], s[0:1], s0, v4, 0
	v_add3_u32 v85, v85, v92, v0
	ds_read2_b32 v[4:5], v13 offset0:35 offset1:45
	ds_read2_b32 v[28:29], v13 offset0:90 offset1:95
	;; [unrolled: 1-line block ×14, first 2 shown]
	ds_read_b32 v13, v73
	ds_read_b32 v57, v72
	s_mov_b32 s1, 0x51eb851f
	v_add_u32_e32 v93, 5, v110
	v_lshl_add_u64 v[72:73], v[84:85], 3, s[6:7]
	global_load_dwordx4 v[82:85], v[82:83], off offset:320
	v_mul_hi_u32 v0, v110, s1
	v_mul_hi_u32 v92, v93, s1
	v_lshrrev_b32_e32 v0, 4, v0
	v_lshrrev_b32_e32 v92, 4, v92
	v_mul_lo_u32 v0, v0, 50
	v_lshl_add_u64 v[2:3], v[2:3], 3, v[72:73]
	v_mul_lo_u32 v72, v92, 50
	v_sub_u32_e32 v96, v110, v0
	v_sub_u32_e32 v0, v93, v72
	v_mad_u64_u32 v[72:73], s[4:5], v92, s2, v[0:1]
	v_lshlrev_b32_e32 v0, 3, v96
	v_mov_b32_e32 v73, v1
	v_lshl_add_u64 v[96:97], v[2:3], 0, v[0:1]
	v_add_u32_e32 v0, 50, v72
	s_waitcnt lgkmcnt(3)
	v_mov_b32_e32 v92, v89
	v_lshl_add_u64 v[94:95], v[72:73], 3, v[2:3]
	v_lshl_add_u64 v[98:99], v[0:1], 3, v[2:3]
	v_add_u32_e32 v0, 0x64, v72
	s_mov_b32 s0, 0x3f5db3d7
	v_lshl_add_u64 v[100:101], v[0:1], 3, v[2:3]
	v_mov_b32_e32 v0, v51
	s_waitcnt vmcnt(2)
	v_pk_mul_f32 v[72:73], v[88:89], v[74:75] op_sel_hi:[0,1]
	s_waitcnt lgkmcnt(2)
	v_pk_mul_f32 v[88:89], v[90:91], v[76:77] op_sel_hi:[0,1]
	v_pk_fma_f32 v[102:103], v[50:51], v[74:75], v[72:73] op_sel:[0,0,1] op_sel_hi:[1,1,0]
	v_pk_fma_f32 v[72:73], v[50:51], v[74:75], v[72:73] op_sel:[0,0,1] op_sel_hi:[0,1,0] neg_lo:[1,0,0] neg_hi:[1,0,0]
	v_pk_fma_f32 v[74:75], v[48:49], v[76:77], v[88:89] op_sel:[0,0,1] op_sel_hi:[1,1,0]
	v_pk_fma_f32 v[76:77], v[48:49], v[76:77], v[88:89] op_sel:[0,0,1] op_sel_hi:[0,1,0] neg_lo:[1,0,0] neg_hi:[1,0,0]
	v_mov_b32_e32 v103, v73
	v_mov_b32_e32 v75, v77
	s_waitcnt lgkmcnt(0)
	v_pk_add_f32 v[72:73], v[56:57], v[102:103]
	v_pk_add_f32 v[76:77], v[102:103], v[74:75]
	v_pk_add_f32 v[88:89], v[102:103], v[74:75] neg_lo:[0,1] neg_hi:[0,1]
	v_pk_add_f32 v[72:73], v[72:73], v[74:75]
	v_pk_fma_f32 v[56:57], v[76:77], 0.5, v[56:57] op_sel_hi:[1,0,1] neg_lo:[1,0,0] neg_hi:[1,0,0]
	v_pk_mul_f32 v[74:75], v[88:89], s[0:1] op_sel_hi:[1,0]
	global_store_dwordx2 v[96:97], v[72:73], off
	v_pk_add_f32 v[72:73], v[56:57], v[74:75] op_sel:[0,1] op_sel_hi:[1,0] neg_lo:[0,1] neg_hi:[0,1]
	v_pk_add_f32 v[56:57], v[56:57], v[74:75] op_sel:[0,1] op_sel_hi:[1,0]
	v_mov_b32_e32 v74, v72
	v_mov_b32_e32 v75, v57
	v_mov_b32_e32 v57, v73
	global_store_dwordx2 v[96:97], v[74:75], off offset:400
	global_store_dwordx2 v[96:97], v[56:57], off offset:800
	global_load_dwordx4 v[72:75], v[86:87], off offset:320
	s_waitcnt vmcnt(5)
	v_pk_mul_f32 v[56:57], v[92:93], v[78:79] op_sel_hi:[0,1]
	v_pk_fma_f32 v[76:77], v[0:1], v[78:79], v[56:57] op_sel:[0,0,1] op_sel_hi:[1,1,0]
	v_pk_fma_f32 v[50:51], v[0:1], v[78:79], v[56:57] op_sel:[0,0,1] op_sel_hi:[0,1,0] neg_lo:[1,0,0] neg_hi:[1,0,0]
	v_mov_b32_e32 v0, v91
	v_mov_b32_e32 v77, v51
	v_pk_mul_f32 v[50:51], v[0:1], v[80:81] op_sel_hi:[0,1]
	v_mov_b32_e32 v0, v49
	v_pk_fma_f32 v[56:57], v[0:1], v[80:81], v[50:51] op_sel:[0,0,1] op_sel_hi:[1,1,0]
	v_pk_fma_f32 v[48:49], v[0:1], v[80:81], v[50:51] op_sel:[0,0,1] op_sel_hi:[0,1,0] neg_lo:[1,0,0] neg_hi:[1,0,0]
	v_mov_b32_e32 v57, v49
	v_pk_add_f32 v[48:49], v[76:77], v[56:57]
	v_mov_b32_e32 v50, v42
	v_mov_b32_e32 v51, v70
	v_pk_add_f32 v[78:79], v[76:77], v[56:57] neg_lo:[0,1] neg_hi:[0,1]
	v_add_u32_e32 v0, 10, v110
	v_pk_fma_f32 v[48:49], v[48:49], 0.5, v[50:51] op_sel_hi:[1,0,1] neg_lo:[1,0,0] neg_hi:[1,0,0]
	v_pk_mul_f32 v[78:79], v[78:79], s[0:1] op_sel_hi:[1,0]
	v_pk_add_f32 v[50:51], v[50:51], v[76:77]
	v_mul_hi_u32 v42, v0, s1
	v_pk_add_f32 v[80:81], v[48:49], v[78:79] op_sel:[0,1] op_sel_hi:[1,0]
	v_pk_add_f32 v[48:49], v[48:49], v[78:79] op_sel:[0,1] op_sel_hi:[1,0] neg_lo:[0,1] neg_hi:[0,1]
	v_pk_add_f32 v[50:51], v[50:51], v[56:57]
	v_lshrrev_b32_e32 v42, 4, v42
	global_store_dwordx2 v[94:95], v[50:51], off
	v_mov_b32_e32 v50, v48
	v_mul_lo_u32 v48, v42, 50
	v_sub_u32_e32 v0, v0, v48
	v_mov_b32_e32 v51, v81
	v_mov_b32_e32 v81, v49
	v_mad_u64_u32 v[48:49], s[4:5], v42, s2, v[0:1]
	v_mov_b32_e32 v49, v1
	v_add_u32_e32 v0, 50, v48
	global_store_dwordx2 v[98:99], v[50:51], off
	v_lshl_add_u64 v[56:57], v[48:49], 3, v[2:3]
	v_lshl_add_u64 v[76:77], v[0:1], 3, v[2:3]
	v_add_u32_e32 v0, 0x64, v48
	global_load_dwordx4 v[48:51], v[66:67], off offset:320
	v_lshl_add_u64 v[78:79], v[0:1], 3, v[2:3]
	global_store_dwordx2 v[100:101], v[80:81], off
	s_waitcnt vmcnt(8)
	v_pk_mul_f32 v[80:81], v[68:69], v[82:83] op_sel_hi:[0,1]
	v_pk_fma_f32 v[66:67], v[34:35], v[82:83], v[80:81] op_sel:[0,0,1] op_sel_hi:[1,1,0]
	v_pk_fma_f32 v[80:81], v[34:35], v[82:83], v[80:81] op_sel:[0,0,1] op_sel_hi:[0,1,0] neg_lo:[1,0,0] neg_hi:[1,0,0]
	v_mov_b32_e32 v67, v81
	v_pk_mul_f32 v[80:81], v[64:65], v[84:85] op_sel_hi:[0,1]
	v_pk_fma_f32 v[82:83], v[32:33], v[84:85], v[80:81] op_sel:[0,0,1] op_sel_hi:[1,1,0]
	v_pk_fma_f32 v[80:81], v[32:33], v[84:85], v[80:81] op_sel:[0,0,1] op_sel_hi:[0,1,0] neg_lo:[1,0,0] neg_hi:[1,0,0]
	v_mov_b32_e32 v83, v81
	v_add_u32_e32 v0, 15, v110
	v_pk_add_f32 v[80:81], v[66:67], v[82:83]
	v_mov_b32_e32 v70, v43
	v_mul_hi_u32 v32, v0, s1
	v_pk_fma_f32 v[42:43], v[80:81], 0.5, v[70:71] op_sel_hi:[1,0,1] neg_lo:[1,0,0] neg_hi:[1,0,0]
	v_pk_add_f32 v[80:81], v[66:67], v[82:83] neg_lo:[0,1] neg_hi:[0,1]
	v_lshrrev_b32_e32 v32, 4, v32
	v_pk_mul_f32 v[80:81], v[80:81], s[0:1] op_sel_hi:[1,0]
	v_pk_add_f32 v[66:67], v[70:71], v[66:67]
	v_mul_lo_u32 v34, v32, 50
	v_pk_add_f32 v[84:85], v[42:43], v[80:81] op_sel:[0,1] op_sel_hi:[1,0]
	v_pk_add_f32 v[42:43], v[42:43], v[80:81] op_sel:[0,1] op_sel_hi:[1,0] neg_lo:[0,1] neg_hi:[0,1]
	v_pk_add_f32 v[66:67], v[66:67], v[82:83]
	v_sub_u32_e32 v0, v0, v34
	global_store_dwordx2 v[56:57], v[66:67], off
	v_mov_b32_e32 v56, v42
	v_mov_b32_e32 v57, v85
	;; [unrolled: 1-line block ×3, first 2 shown]
	v_mad_u64_u32 v[42:43], s[4:5], v32, s2, v[0:1]
	v_add_u32_e32 v0, 50, v42
	v_mov_b32_e32 v43, v1
	v_lshl_add_u64 v[70:71], v[0:1], 3, v[2:3]
	v_add_u32_e32 v0, 0x64, v42
	global_store_dwordx2 v[76:77], v[56:57], off
	v_lshl_add_u64 v[56:57], v[42:43], 3, v[2:3]
	v_lshl_add_u64 v[42:43], v[0:1], 3, v[2:3]
	v_mov_b32_e32 v0, v69
	global_load_dwordx4 v[66:69], v[62:63], off offset:320
	s_waitcnt vmcnt(7)
	v_pk_mul_f32 v[76:77], v[0:1], v[72:73] op_sel_hi:[0,1]
	v_mov_b32_e32 v0, v35
	v_pk_fma_f32 v[62:63], v[0:1], v[72:73], v[76:77] op_sel:[0,0,1] op_sel_hi:[1,1,0]
	v_pk_fma_f32 v[34:35], v[0:1], v[72:73], v[76:77] op_sel:[0,0,1] op_sel_hi:[0,1,0] neg_lo:[1,0,0] neg_hi:[1,0,0]
	v_mov_b32_e32 v0, v65
	v_mov_b32_e32 v63, v35
	v_pk_mul_f32 v[34:35], v[0:1], v[74:75] op_sel_hi:[0,1]
	v_mov_b32_e32 v0, v33
	v_pk_fma_f32 v[64:65], v[0:1], v[74:75], v[34:35] op_sel:[0,0,1] op_sel_hi:[1,1,0]
	v_pk_fma_f32 v[32:33], v[0:1], v[74:75], v[34:35] op_sel:[0,0,1] op_sel_hi:[0,1,0] neg_lo:[1,0,0] neg_hi:[1,0,0]
	v_mov_b32_e32 v65, v33
	v_pk_add_f32 v[32:33], v[62:63], v[64:65]
	v_mov_b32_e32 v34, v26
	v_mov_b32_e32 v35, v60
	v_pk_add_f32 v[72:73], v[62:63], v[64:65] neg_lo:[0,1] neg_hi:[0,1]
	v_add_u32_e32 v0, 20, v110
	v_pk_fma_f32 v[32:33], v[32:33], 0.5, v[34:35] op_sel_hi:[1,0,1] neg_lo:[1,0,0] neg_hi:[1,0,0]
	v_pk_mul_f32 v[72:73], v[72:73], s[0:1] op_sel_hi:[1,0]
	v_pk_add_f32 v[34:35], v[34:35], v[62:63]
	v_mul_hi_u32 v26, v0, s1
	v_pk_add_f32 v[74:75], v[32:33], v[72:73] op_sel:[0,1] op_sel_hi:[1,0]
	v_pk_add_f32 v[32:33], v[32:33], v[72:73] op_sel:[0,1] op_sel_hi:[1,0] neg_lo:[0,1] neg_hi:[0,1]
	v_pk_add_f32 v[34:35], v[34:35], v[64:65]
	v_lshrrev_b32_e32 v26, 4, v26
	global_store_dwordx2 v[78:79], v[84:85], off
	global_store_dwordx2 v[56:57], v[34:35], off
	v_mov_b32_e32 v34, v32
	v_mul_lo_u32 v32, v26, 50
	v_sub_u32_e32 v0, v0, v32
	v_mov_b32_e32 v35, v75
	v_mov_b32_e32 v75, v33
	v_mad_u64_u32 v[32:33], s[4:5], v26, s2, v[0:1]
	v_mov_b32_e32 v33, v1
	v_add_u32_e32 v0, 50, v32
	global_store_dwordx2 v[70:71], v[34:35], off
	global_store_dwordx2 v[42:43], v[74:75], off
	v_lshl_add_u64 v[42:43], v[32:33], 3, v[2:3]
	v_lshl_add_u64 v[56:57], v[0:1], 3, v[2:3]
	v_add_u32_e32 v0, 0x64, v32
	global_load_dwordx4 v[32:35], v[54:55], off offset:320
	s_waitcnt vmcnt(9)
	v_pk_mul_f32 v[64:65], v[58:59], v[48:49] op_sel_hi:[0,1]
	v_pk_fma_f32 v[54:55], v[22:23], v[48:49], v[64:65] op_sel:[0,0,1] op_sel_hi:[1,1,0]
	v_pk_fma_f32 v[48:49], v[22:23], v[48:49], v[64:65] op_sel:[0,0,1] op_sel_hi:[0,1,0] neg_lo:[1,0,0] neg_hi:[1,0,0]
	v_mov_b32_e32 v55, v49
	v_pk_mul_f32 v[48:49], v[52:53], v[50:51] op_sel_hi:[0,1]
	v_pk_fma_f32 v[64:65], v[20:21], v[50:51], v[48:49] op_sel:[0,0,1] op_sel_hi:[1,1,0]
	v_pk_fma_f32 v[48:49], v[20:21], v[50:51], v[48:49] op_sel:[0,0,1] op_sel_hi:[0,1,0] neg_lo:[1,0,0] neg_hi:[1,0,0]
	v_mov_b32_e32 v65, v49
	v_lshl_add_u64 v[62:63], v[0:1], 3, v[2:3]
	v_pk_add_f32 v[48:49], v[54:55], v[64:65]
	v_mov_b32_e32 v60, v27
	v_add_u32_e32 v0, 25, v110
	v_pk_fma_f32 v[26:27], v[48:49], 0.5, v[60:61] op_sel_hi:[1,0,1] neg_lo:[1,0,0] neg_hi:[1,0,0]
	v_pk_add_f32 v[48:49], v[54:55], v[64:65] neg_lo:[0,1] neg_hi:[0,1]
	v_mul_hi_u32 v20, v0, s1
	v_pk_mul_f32 v[48:49], v[48:49], s[0:1] op_sel_hi:[1,0]
	v_lshrrev_b32_e32 v20, 4, v20
	v_pk_add_f32 v[50:51], v[26:27], v[48:49] op_sel:[0,1] op_sel_hi:[1,0]
	v_pk_add_f32 v[26:27], v[26:27], v[48:49] op_sel:[0,1] op_sel_hi:[1,0] neg_lo:[0,1] neg_hi:[0,1]
	v_pk_add_f32 v[48:49], v[60:61], v[54:55]
	v_mul_lo_u32 v22, v20, 50
	v_pk_add_f32 v[48:49], v[48:49], v[64:65]
	v_sub_u32_e32 v0, v0, v22
	global_store_dwordx2 v[42:43], v[48:49], off
	v_mov_b32_e32 v42, v26
	v_mov_b32_e32 v43, v51
	;; [unrolled: 1-line block ×3, first 2 shown]
	v_mad_u64_u32 v[26:27], s[4:5], v20, s2, v[0:1]
	v_add_u32_e32 v0, 50, v26
	global_store_dwordx2 v[62:63], v[50:51], off
	v_mov_b32_e32 v27, v1
	v_lshl_add_u64 v[50:51], v[0:1], 3, v[2:3]
	v_add_u32_e32 v0, 0x64, v26
	global_store_dwordx2 v[56:57], v[42:43], off
	v_lshl_add_u64 v[42:43], v[26:27], 3, v[2:3]
	v_lshl_add_u64 v[26:27], v[0:1], 3, v[2:3]
	v_mov_b32_e32 v0, v59
	s_waitcnt vmcnt(8)
	v_pk_mul_f32 v[54:55], v[0:1], v[66:67] op_sel_hi:[0,1]
	v_mov_b32_e32 v0, v23
	v_pk_fma_f32 v[56:57], v[0:1], v[66:67], v[54:55] op_sel:[0,0,1] op_sel_hi:[1,1,0]
	v_pk_fma_f32 v[22:23], v[0:1], v[66:67], v[54:55] op_sel:[0,0,1] op_sel_hi:[0,1,0] neg_lo:[1,0,0] neg_hi:[1,0,0]
	v_mov_b32_e32 v0, v53
	v_mov_b32_e32 v57, v23
	v_pk_mul_f32 v[22:23], v[0:1], v[68:69] op_sel_hi:[0,1]
	v_mov_b32_e32 v0, v21
	v_pk_fma_f32 v[52:53], v[0:1], v[68:69], v[22:23] op_sel:[0,0,1] op_sel_hi:[1,1,0]
	v_pk_fma_f32 v[20:21], v[0:1], v[68:69], v[22:23] op_sel:[0,0,1] op_sel_hi:[0,1,0] neg_lo:[1,0,0] neg_hi:[1,0,0]
	global_load_dwordx4 v[46:49], v[46:47], off offset:320
	v_mov_b32_e32 v53, v21
	v_pk_add_f32 v[20:21], v[56:57], v[52:53]
	v_mov_b32_e32 v22, v18
	v_mov_b32_e32 v23, v44
	v_pk_add_f32 v[54:55], v[56:57], v[52:53] neg_lo:[0,1] neg_hi:[0,1]
	v_add_u32_e32 v0, 30, v110
	v_pk_fma_f32 v[20:21], v[20:21], 0.5, v[22:23] op_sel_hi:[1,0,1] neg_lo:[1,0,0] neg_hi:[1,0,0]
	v_pk_mul_f32 v[54:55], v[54:55], s[0:1] op_sel_hi:[1,0]
	v_pk_add_f32 v[22:23], v[22:23], v[56:57]
	v_mul_hi_u32 v18, v0, s1
	v_pk_add_f32 v[58:59], v[20:21], v[54:55] op_sel:[0,1] op_sel_hi:[1,0]
	v_pk_add_f32 v[20:21], v[20:21], v[54:55] op_sel:[0,1] op_sel_hi:[1,0] neg_lo:[0,1] neg_hi:[0,1]
	v_pk_add_f32 v[22:23], v[22:23], v[52:53]
	v_lshrrev_b32_e32 v18, 4, v18
	global_store_dwordx2 v[42:43], v[22:23], off
	v_mov_b32_e32 v22, v20
	v_mul_lo_u32 v20, v18, 50
	v_sub_u32_e32 v0, v0, v20
	v_mov_b32_e32 v23, v59
	v_mov_b32_e32 v59, v21
	v_mad_u64_u32 v[20:21], s[4:5], v18, s2, v[0:1]
	v_mov_b32_e32 v21, v1
	v_add_u32_e32 v0, 50, v20
	global_store_dwordx2 v[50:51], v[22:23], off
	global_store_dwordx2 v[26:27], v[58:59], off
	v_lshl_add_u64 v[26:27], v[20:21], 3, v[2:3]
	v_lshl_add_u64 v[42:43], v[0:1], 3, v[2:3]
	v_add_u32_e32 v0, 0x64, v20
	global_load_dwordx4 v[20:23], v[40:41], off offset:320
	s_waitcnt vmcnt(8)
	v_pk_mul_f32 v[52:53], v[38:39], v[32:33] op_sel_hi:[0,1]
	v_pk_fma_f32 v[40:41], v[16:17], v[32:33], v[52:53] op_sel:[0,0,1] op_sel_hi:[1,1,0]
	v_pk_fma_f32 v[32:33], v[16:17], v[32:33], v[52:53] op_sel:[0,0,1] op_sel_hi:[0,1,0] neg_lo:[1,0,0] neg_hi:[1,0,0]
	v_mov_b32_e32 v41, v33
	v_pk_mul_f32 v[32:33], v[36:37], v[34:35] op_sel_hi:[0,1]
	v_pk_fma_f32 v[52:53], v[14:15], v[34:35], v[32:33] op_sel:[0,0,1] op_sel_hi:[1,1,0]
	v_pk_fma_f32 v[32:33], v[14:15], v[34:35], v[32:33] op_sel:[0,0,1] op_sel_hi:[0,1,0] neg_lo:[1,0,0] neg_hi:[1,0,0]
	v_mov_b32_e32 v53, v33
	v_pk_add_f32 v[32:33], v[40:41], v[52:53]
	v_mov_b32_e32 v44, v19
	v_pk_fma_f32 v[18:19], v[32:33], 0.5, v[44:45] op_sel_hi:[1,0,1] neg_lo:[1,0,0] neg_hi:[1,0,0]
	v_pk_add_f32 v[32:33], v[40:41], v[52:53] neg_lo:[0,1] neg_hi:[0,1]
	v_lshl_add_u64 v[50:51], v[0:1], 3, v[2:3]
	v_pk_mul_f32 v[32:33], v[32:33], s[0:1] op_sel_hi:[1,0]
	v_add_u32_e32 v0, 35, v110
	v_pk_add_f32 v[34:35], v[18:19], v[32:33] op_sel:[0,1] op_sel_hi:[1,0]
	v_pk_add_f32 v[18:19], v[18:19], v[32:33] op_sel:[0,1] op_sel_hi:[1,0] neg_lo:[0,1] neg_hi:[0,1]
	v_pk_add_f32 v[32:33], v[44:45], v[40:41]
	v_mul_hi_u32 v14, v0, s1
	v_pk_add_f32 v[32:33], v[32:33], v[52:53]
	global_store_dwordx2 v[26:27], v[32:33], off
	global_load_dwordx4 v[30:33], v[30:31], off offset:320
	v_lshrrev_b32_e32 v14, 4, v14
	v_mul_lo_u32 v16, v14, 50
	v_sub_u32_e32 v0, v0, v16
	v_mov_b32_e32 v26, v18
	v_mov_b32_e32 v27, v35
	;; [unrolled: 1-line block ×3, first 2 shown]
	v_mad_u64_u32 v[18:19], s[4:5], v14, s2, v[0:1]
	v_add_u32_e32 v0, 50, v18
	global_store_dwordx2 v[50:51], v[34:35], off
	v_mov_b32_e32 v19, v1
	v_lshl_add_u64 v[34:35], v[0:1], 3, v[2:3]
	v_add_u32_e32 v0, 0x64, v18
	global_store_dwordx2 v[42:43], v[26:27], off
	v_lshl_add_u64 v[26:27], v[18:19], 3, v[2:3]
	v_lshl_add_u64 v[18:19], v[0:1], 3, v[2:3]
	v_mov_b32_e32 v0, v39
	s_waitcnt vmcnt(8)
	v_pk_mul_f32 v[38:39], v[0:1], v[46:47] op_sel_hi:[0,1]
	v_mov_b32_e32 v0, v17
	v_pk_fma_f32 v[40:41], v[0:1], v[46:47], v[38:39] op_sel:[0,0,1] op_sel_hi:[1,1,0]
	v_pk_fma_f32 v[16:17], v[0:1], v[46:47], v[38:39] op_sel:[0,0,1] op_sel_hi:[0,1,0] neg_lo:[1,0,0] neg_hi:[1,0,0]
	v_mov_b32_e32 v0, v37
	v_mov_b32_e32 v41, v17
	v_pk_mul_f32 v[16:17], v[0:1], v[48:49] op_sel_hi:[0,1]
	v_mov_b32_e32 v0, v15
	v_pk_fma_f32 v[36:37], v[0:1], v[48:49], v[16:17] op_sel:[0,0,1] op_sel_hi:[1,1,0]
	v_pk_fma_f32 v[14:15], v[0:1], v[48:49], v[16:17] op_sel:[0,0,1] op_sel_hi:[0,1,0] neg_lo:[1,0,0] neg_hi:[1,0,0]
	v_mov_b32_e32 v37, v15
	v_add_u32_e32 v0, 40, v110
	v_pk_add_f32 v[14:15], v[40:41], v[36:37]
	v_mov_b32_e32 v16, v6
	v_mov_b32_e32 v17, v4
	v_pk_add_f32 v[38:39], v[40:41], v[36:37] neg_lo:[0,1] neg_hi:[0,1]
	v_mul_hi_u32 v4, v0, s1
	v_pk_fma_f32 v[14:15], v[14:15], 0.5, v[16:17] op_sel_hi:[1,0,1] neg_lo:[1,0,0] neg_hi:[1,0,0]
	v_pk_mul_f32 v[38:39], v[38:39], s[0:1] op_sel_hi:[1,0]
	v_pk_add_f32 v[16:17], v[16:17], v[40:41]
	v_lshrrev_b32_e32 v4, 4, v4
	v_pk_add_f32 v[42:43], v[14:15], v[38:39] op_sel:[0,1] op_sel_hi:[1,0]
	v_pk_add_f32 v[14:15], v[14:15], v[38:39] op_sel:[0,1] op_sel_hi:[1,0] neg_lo:[0,1] neg_hi:[0,1]
	v_pk_add_f32 v[16:17], v[16:17], v[36:37]
	v_mul_lo_u32 v6, v4, 50
	global_store_dwordx2 v[26:27], v[16:17], off
	v_mov_b32_e32 v16, v14
	v_mov_b32_e32 v17, v43
	v_sub_u32_e32 v0, v0, v6
	global_store_dwordx2 v[34:35], v[16:17], off
	s_waitcnt vmcnt(6)
	v_pk_mul_f32 v[26:27], v[28:29], v[20:21] op_sel_hi:[0,1]
	v_mov_b32_e32 v43, v15
	v_mad_u64_u32 v[14:15], s[4:5], v4, s2, v[0:1]
	v_pk_fma_f32 v[34:35], v[10:11], v[20:21], v[26:27] op_sel:[0,0,1] op_sel_hi:[1,1,0]
	v_pk_fma_f32 v[20:21], v[10:11], v[20:21], v[26:27] op_sel:[0,0,1] op_sel_hi:[0,1,0] neg_lo:[1,0,0] neg_hi:[1,0,0]
	v_add_u32_e32 v0, 50, v14
	v_mov_b32_e32 v35, v21
	v_pk_mul_f32 v[20:21], v[24:25], v[22:23] op_sel_hi:[0,1]
	global_store_dwordx2 v[18:19], v[42:43], off
	v_mov_b32_e32 v15, v1
	v_lshl_add_u64 v[18:19], v[0:1], 3, v[2:3]
	v_add_u32_e32 v0, 0x64, v14
	v_pk_fma_f32 v[26:27], v[8:9], v[22:23], v[20:21] op_sel:[0,0,1] op_sel_hi:[1,1,0]
	v_pk_fma_f32 v[20:21], v[8:9], v[22:23], v[20:21] op_sel:[0,0,1] op_sel_hi:[0,1,0] neg_lo:[1,0,0] neg_hi:[1,0,0]
	v_lshl_add_u64 v[16:17], v[14:15], 3, v[2:3]
	v_lshl_add_u64 v[14:15], v[0:1], 3, v[2:3]
	v_mov_b32_e32 v27, v21
	v_add_u32_e32 v0, 45, v110
	v_pk_add_f32 v[20:21], v[34:35], v[26:27]
	v_pk_add_f32 v[22:23], v[34:35], v[26:27] neg_lo:[0,1] neg_hi:[0,1]
	v_mul_hi_u32 v4, v0, s1
	v_pk_fma_f32 v[20:21], v[20:21], 0.5, v[12:13] op_sel_hi:[1,0,1] neg_lo:[1,0,0] neg_hi:[1,0,0]
	v_pk_mul_f32 v[22:23], v[22:23], s[0:1] op_sel_hi:[1,0]
	v_pk_add_f32 v[12:13], v[12:13], v[34:35]
	v_lshrrev_b32_e32 v4, 4, v4
	v_pk_add_f32 v[36:37], v[20:21], v[22:23] op_sel:[0,1] op_sel_hi:[1,0]
	v_pk_add_f32 v[20:21], v[20:21], v[22:23] op_sel:[0,1] op_sel_hi:[1,0] neg_lo:[0,1] neg_hi:[0,1]
	v_pk_add_f32 v[12:13], v[12:13], v[26:27]
	v_mul_lo_u32 v6, v4, 50
	global_store_dwordx2 v[16:17], v[12:13], off
	v_mov_b32_e32 v12, v20
	v_mov_b32_e32 v13, v37
	v_sub_u32_e32 v0, v0, v6
	global_store_dwordx2 v[18:19], v[12:13], off
	v_mad_u64_u32 v[12:13], s[2:3], v4, s2, v[0:1]
	v_add_u32_e32 v0, 50, v12
	v_mov_b32_e32 v37, v21
	v_mov_b32_e32 v13, v1
	v_lshl_add_u64 v[16:17], v[0:1], 3, v[2:3]
	v_add_u32_e32 v0, 0x64, v12
	global_store_dwordx2 v[14:15], v[36:37], off
	v_lshl_add_u64 v[14:15], v[12:13], 3, v[2:3]
	v_lshl_add_u64 v[0:1], v[0:1], 3, v[2:3]
	v_mov_b32_e32 v2, v29
	s_waitcnt vmcnt(8)
	v_pk_mul_f32 v[2:3], v[2:3], v[30:31] op_sel_hi:[0,1]
	v_mov_b32_e32 v4, v11
	v_pk_fma_f32 v[12:13], v[4:5], v[30:31], v[2:3] op_sel:[0,0,1] op_sel_hi:[1,1,0]
	v_pk_fma_f32 v[2:3], v[4:5], v[30:31], v[2:3] op_sel:[0,0,1] op_sel_hi:[0,1,0] neg_lo:[1,0,0] neg_hi:[1,0,0]
	v_mov_b32_e32 v2, v25
	v_mov_b32_e32 v13, v3
	v_pk_mul_f32 v[2:3], v[2:3], v[32:33] op_sel_hi:[0,1]
	v_mov_b32_e32 v4, v9
	v_pk_fma_f32 v[10:11], v[4:5], v[32:33], v[2:3] op_sel:[0,0,1] op_sel_hi:[1,1,0]
	v_pk_fma_f32 v[2:3], v[4:5], v[32:33], v[2:3] op_sel:[0,0,1] op_sel_hi:[0,1,0] neg_lo:[1,0,0] neg_hi:[1,0,0]
	v_mov_b32_e32 v11, v3
	v_pk_add_f32 v[2:3], v[12:13], v[10:11]
	v_mov_b32_e32 v4, v7
	v_pk_add_f32 v[6:7], v[12:13], v[10:11] neg_lo:[0,1] neg_hi:[0,1]
	v_pk_fma_f32 v[2:3], v[2:3], 0.5, v[4:5] op_sel_hi:[1,0,1] neg_lo:[1,0,0] neg_hi:[1,0,0]
	v_pk_mul_f32 v[6:7], v[6:7], s[0:1] op_sel_hi:[1,0]
	v_pk_add_f32 v[4:5], v[4:5], v[12:13]
	v_pk_add_f32 v[8:9], v[2:3], v[6:7] op_sel:[0,1] op_sel_hi:[1,0]
	v_pk_add_f32 v[2:3], v[2:3], v[6:7] op_sel:[0,1] op_sel_hi:[1,0] neg_lo:[0,1] neg_hi:[0,1]
	v_pk_add_f32 v[4:5], v[4:5], v[10:11]
	global_store_dwordx2 v[14:15], v[4:5], off
	v_mov_b32_e32 v4, v2
	v_mov_b32_e32 v5, v9
	;; [unrolled: 1-line block ×3, first 2 shown]
	global_store_dwordx2 v[16:17], v[4:5], off
	global_store_dwordx2 v[0:1], v[8:9], off
.LBB0_14:
	s_endpgm
	.section	.rodata,"a",@progbits
	.p2align	6, 0x0
	.amdhsa_kernel fft_rtc_back_len150_factors_10_5_3_wgs_60_tpt_5_halfLds_sp_op_CI_CI_unitstride_sbrr_dirReg
		.amdhsa_group_segment_fixed_size 0
		.amdhsa_private_segment_fixed_size 0
		.amdhsa_kernarg_size 104
		.amdhsa_user_sgpr_count 2
		.amdhsa_user_sgpr_dispatch_ptr 0
		.amdhsa_user_sgpr_queue_ptr 0
		.amdhsa_user_sgpr_kernarg_segment_ptr 1
		.amdhsa_user_sgpr_dispatch_id 0
		.amdhsa_user_sgpr_kernarg_preload_length 0
		.amdhsa_user_sgpr_kernarg_preload_offset 0
		.amdhsa_user_sgpr_private_segment_size 0
		.amdhsa_uses_dynamic_stack 0
		.amdhsa_enable_private_segment 0
		.amdhsa_system_sgpr_workgroup_id_x 1
		.amdhsa_system_sgpr_workgroup_id_y 0
		.amdhsa_system_sgpr_workgroup_id_z 0
		.amdhsa_system_sgpr_workgroup_info 0
		.amdhsa_system_vgpr_workitem_id 0
		.amdhsa_next_free_vgpr 128
		.amdhsa_next_free_sgpr 28
		.amdhsa_accum_offset 128
		.amdhsa_reserve_vcc 1
		.amdhsa_float_round_mode_32 0
		.amdhsa_float_round_mode_16_64 0
		.amdhsa_float_denorm_mode_32 3
		.amdhsa_float_denorm_mode_16_64 3
		.amdhsa_dx10_clamp 1
		.amdhsa_ieee_mode 1
		.amdhsa_fp16_overflow 0
		.amdhsa_tg_split 0
		.amdhsa_exception_fp_ieee_invalid_op 0
		.amdhsa_exception_fp_denorm_src 0
		.amdhsa_exception_fp_ieee_div_zero 0
		.amdhsa_exception_fp_ieee_overflow 0
		.amdhsa_exception_fp_ieee_underflow 0
		.amdhsa_exception_fp_ieee_inexact 0
		.amdhsa_exception_int_div_zero 0
	.end_amdhsa_kernel
	.text
.Lfunc_end0:
	.size	fft_rtc_back_len150_factors_10_5_3_wgs_60_tpt_5_halfLds_sp_op_CI_CI_unitstride_sbrr_dirReg, .Lfunc_end0-fft_rtc_back_len150_factors_10_5_3_wgs_60_tpt_5_halfLds_sp_op_CI_CI_unitstride_sbrr_dirReg
                                        ; -- End function
	.section	.AMDGPU.csdata,"",@progbits
; Kernel info:
; codeLenInByte = 11808
; NumSgprs: 34
; NumVgprs: 128
; NumAgprs: 0
; TotalNumVgprs: 128
; ScratchSize: 0
; MemoryBound: 0
; FloatMode: 240
; IeeeMode: 1
; LDSByteSize: 0 bytes/workgroup (compile time only)
; SGPRBlocks: 4
; VGPRBlocks: 15
; NumSGPRsForWavesPerEU: 34
; NumVGPRsForWavesPerEU: 128
; AccumOffset: 128
; Occupancy: 4
; WaveLimiterHint : 1
; COMPUTE_PGM_RSRC2:SCRATCH_EN: 0
; COMPUTE_PGM_RSRC2:USER_SGPR: 2
; COMPUTE_PGM_RSRC2:TRAP_HANDLER: 0
; COMPUTE_PGM_RSRC2:TGID_X_EN: 1
; COMPUTE_PGM_RSRC2:TGID_Y_EN: 0
; COMPUTE_PGM_RSRC2:TGID_Z_EN: 0
; COMPUTE_PGM_RSRC2:TIDIG_COMP_CNT: 0
; COMPUTE_PGM_RSRC3_GFX90A:ACCUM_OFFSET: 31
; COMPUTE_PGM_RSRC3_GFX90A:TG_SPLIT: 0
	.text
	.p2alignl 6, 3212836864
	.fill 256, 4, 3212836864
	.type	__hip_cuid_b61a6f1d79cb5b0c,@object ; @__hip_cuid_b61a6f1d79cb5b0c
	.section	.bss,"aw",@nobits
	.globl	__hip_cuid_b61a6f1d79cb5b0c
__hip_cuid_b61a6f1d79cb5b0c:
	.byte	0                               ; 0x0
	.size	__hip_cuid_b61a6f1d79cb5b0c, 1

	.ident	"AMD clang version 19.0.0git (https://github.com/RadeonOpenCompute/llvm-project roc-6.4.0 25133 c7fe45cf4b819c5991fe208aaa96edf142730f1d)"
	.section	".note.GNU-stack","",@progbits
	.addrsig
	.addrsig_sym __hip_cuid_b61a6f1d79cb5b0c
	.amdgpu_metadata
---
amdhsa.kernels:
  - .agpr_count:     0
    .args:
      - .actual_access:  read_only
        .address_space:  global
        .offset:         0
        .size:           8
        .value_kind:     global_buffer
      - .offset:         8
        .size:           8
        .value_kind:     by_value
      - .actual_access:  read_only
        .address_space:  global
        .offset:         16
        .size:           8
        .value_kind:     global_buffer
      - .actual_access:  read_only
        .address_space:  global
        .offset:         24
        .size:           8
        .value_kind:     global_buffer
      - .actual_access:  read_only
        .address_space:  global
        .offset:         32
        .size:           8
        .value_kind:     global_buffer
      - .offset:         40
        .size:           8
        .value_kind:     by_value
      - .actual_access:  read_only
        .address_space:  global
        .offset:         48
        .size:           8
        .value_kind:     global_buffer
      - .actual_access:  read_only
        .address_space:  global
        .offset:         56
        .size:           8
        .value_kind:     global_buffer
      - .offset:         64
        .size:           4
        .value_kind:     by_value
      - .actual_access:  read_only
        .address_space:  global
        .offset:         72
        .size:           8
        .value_kind:     global_buffer
      - .actual_access:  read_only
        .address_space:  global
        .offset:         80
        .size:           8
        .value_kind:     global_buffer
      - .actual_access:  read_only
        .address_space:  global
        .offset:         88
        .size:           8
        .value_kind:     global_buffer
      - .actual_access:  write_only
        .address_space:  global
        .offset:         96
        .size:           8
        .value_kind:     global_buffer
    .group_segment_fixed_size: 0
    .kernarg_segment_align: 8
    .kernarg_segment_size: 104
    .language:       OpenCL C
    .language_version:
      - 2
      - 0
    .max_flat_workgroup_size: 60
    .name:           fft_rtc_back_len150_factors_10_5_3_wgs_60_tpt_5_halfLds_sp_op_CI_CI_unitstride_sbrr_dirReg
    .private_segment_fixed_size: 0
    .sgpr_count:     34
    .sgpr_spill_count: 0
    .symbol:         fft_rtc_back_len150_factors_10_5_3_wgs_60_tpt_5_halfLds_sp_op_CI_CI_unitstride_sbrr_dirReg.kd
    .uniform_work_group_size: 1
    .uses_dynamic_stack: false
    .vgpr_count:     128
    .vgpr_spill_count: 0
    .wavefront_size: 64
amdhsa.target:   amdgcn-amd-amdhsa--gfx950
amdhsa.version:
  - 1
  - 2
...

	.end_amdgpu_metadata
